;; amdgpu-corpus repo=ROCm/rocFFT kind=compiled arch=gfx1030 opt=O3
	.text
	.amdgcn_target "amdgcn-amd-amdhsa--gfx1030"
	.amdhsa_code_object_version 6
	.protected	bluestein_single_back_len1040_dim1_half_op_CI_CI ; -- Begin function bluestein_single_back_len1040_dim1_half_op_CI_CI
	.globl	bluestein_single_back_len1040_dim1_half_op_CI_CI
	.p2align	8
	.type	bluestein_single_back_len1040_dim1_half_op_CI_CI,@function
bluestein_single_back_len1040_dim1_half_op_CI_CI: ; @bluestein_single_back_len1040_dim1_half_op_CI_CI
; %bb.0:
	s_load_dwordx4 s[0:3], s[4:5], 0x28
	v_mul_u32_u24_e32 v1, 0x13c, v0
	v_mov_b32_e32 v20, 0
	v_lshrrev_b32_e32 v1, 16, v1
	v_add_nc_u32_e32 v19, s6, v1
	s_waitcnt lgkmcnt(0)
	v_cmp_gt_u64_e32 vcc_lo, s[0:1], v[19:20]
	s_and_saveexec_b32 s0, vcc_lo
	s_cbranch_execz .LBB0_23
; %bb.1:
	v_mul_lo_u16 v1, 0xd0, v1
	s_clause 0x1
	s_load_dwordx2 s[12:13], s[4:5], 0x0
	s_load_dwordx2 s[6:7], s[4:5], 0x38
	v_sub_nc_u16 v0, v0, v1
	v_and_b32_e32 v40, 0xffff, v0
	v_cmp_gt_u16_e32 vcc_lo, 0x50, v0
	v_lshlrev_b32_e32 v38, 2, v40
	v_or_b32_e32 v39, 0x280, v40
	s_and_saveexec_b32 s1, vcc_lo
	s_cbranch_execz .LBB0_3
; %bb.2:
	s_load_dwordx2 s[8:9], s[4:5], 0x18
	v_lshlrev_b32_e32 v9, 2, v39
	v_add_nc_u32_e32 v30, 0x600, v38
	s_waitcnt lgkmcnt(0)
	s_load_dwordx4 s[8:11], s[8:9], 0x0
	s_clause 0x3
	global_load_dword v12, v38, s[12:13]
	global_load_dword v13, v38, s[12:13] offset:320
	global_load_dword v14, v38, s[12:13] offset:640
	global_load_dword v15, v9, s[12:13]
	s_waitcnt lgkmcnt(0)
	v_mad_u64_u32 v[0:1], null, s10, v19, 0
	v_mad_u64_u32 v[2:3], null, s8, v40, 0
	s_mul_i32 s10, s9, 0x140
	s_mul_i32 s14, s8, 0x140
	v_mad_u64_u32 v[4:5], null, s11, v19, v[1:2]
	v_mad_u64_u32 v[5:6], null, s8, v39, 0
	s_mul_hi_u32 s11, s8, 0x140
	s_add_i32 s11, s11, s10
	v_mad_u64_u32 v[7:8], null, s9, v40, v[3:4]
	v_mov_b32_e32 v1, v4
	v_mov_b32_e32 v4, v6
	v_lshlrev_b64 v[0:1], 2, v[0:1]
	v_mov_b32_e32 v3, v7
	v_mad_u64_u32 v[6:7], null, s9, v39, v[4:5]
	v_lshlrev_b64 v[2:3], 2, v[2:3]
	v_add_co_u32 v8, s0, s2, v0
	v_add_co_ci_u32_e64 v9, s0, s3, v1, s0
	v_lshlrev_b64 v[4:5], 2, v[5:6]
	v_add_co_u32 v0, s0, v8, v2
	v_add_co_ci_u32_e64 v1, s0, v9, v3, s0
	v_add_co_u32 v2, s0, v0, s14
	v_add_co_ci_u32_e64 v3, s0, s11, v1, s0
	global_load_dword v16, v[0:1], off
	v_add_co_u32 v6, s0, v2, s14
	v_add_co_ci_u32_e64 v7, s0, s11, v3, s0
	v_add_co_u32 v4, s0, v8, v4
	v_add_co_ci_u32_e64 v5, s0, v9, v5, s0
	;; [unrolled: 2-line block ×3, first 2 shown]
	s_clause 0x2
	global_load_dword v17, v[4:5], off
	global_load_dword v20, v[6:7], off
	global_load_dword v18, v[2:3], off
	v_add_co_u32 v0, s0, v8, s14
	v_add_co_ci_u32_e64 v1, s0, s11, v9, s0
	global_load_dword v8, v[8:9], off
	s_clause 0x1
	global_load_dword v9, v38, s[12:13] offset:960
	global_load_dword v21, v38, s[12:13] offset:1280
	global_load_dword v22, v[0:1], off
	v_add_co_u32 v4, s0, v0, s14
	v_add_co_ci_u32_e64 v5, s0, s11, v1, s0
	global_load_dword v24, v38, s[12:13] offset:1600
	global_load_dword v25, v[4:5], off
	v_add_co_u32 v2, s0, v4, s14
	v_add_co_ci_u32_e64 v3, s0, s11, v5, s0
	v_add_co_u32 v6, s0, v2, s14
	v_add_co_ci_u32_e64 v7, s0, s11, v3, s0
	v_mad_u64_u32 v[10:11], null, 0x280, s8, v[6:7]
	v_mov_b32_e32 v0, v11
	v_add_co_u32 v11, s0, s12, v38
	v_add_co_ci_u32_e64 v23, null, s13, 0, s0
	v_mad_u64_u32 v[0:1], null, 0x280, s9, v[0:1]
	v_add_co_u32 v4, s0, 0x800, v11
	v_add_co_ci_u32_e64 v5, s0, 0, v23, s0
	global_load_dword v23, v[2:3], off
	global_load_dword v26, v38, s[12:13] offset:1920
	global_load_dword v6, v[6:7], off
	s_clause 0x1
	global_load_dword v7, v[4:5], off offset:192
	global_load_dword v27, v[4:5], off offset:832
	v_mov_b32_e32 v11, v0
	v_add_co_u32 v0, s0, v10, s14
	v_add_co_ci_u32_e64 v1, s0, s11, v11, s0
	global_load_dword v10, v[10:11], off
	v_add_co_u32 v2, s0, v0, s14
	v_add_co_ci_u32_e64 v3, s0, s11, v1, s0
	global_load_dword v11, v[0:1], off
	v_add_co_u32 v0, s0, v2, s14
	v_add_co_ci_u32_e64 v1, s0, s11, v3, s0
	global_load_dword v28, v[4:5], off offset:1152
	global_load_dword v2, v[2:3], off
	global_load_dword v0, v[0:1], off
	s_clause 0x1
	global_load_dword v1, v[4:5], off offset:1472
	global_load_dword v3, v[4:5], off offset:1792
	v_add_nc_u32_e32 v4, 0x400, v38
	s_waitcnt vmcnt(21)
	v_lshrrev_b32_e32 v5, 16, v16
	v_mul_f16_sdwa v29, v12, v16 dst_sel:DWORD dst_unused:UNUSED_PAD src0_sel:WORD_1 src1_sel:DWORD
	v_mul_f16_sdwa v33, v12, v5 dst_sel:DWORD dst_unused:UNUSED_PAD src0_sel:WORD_1 src1_sel:DWORD
	v_fma_f16 v5, v12, v5, -v29
	v_fmac_f16_e32 v33, v12, v16
	s_waitcnt vmcnt(20)
	v_lshrrev_b32_e32 v31, 16, v17
	v_mul_f16_sdwa v32, v15, v17 dst_sel:DWORD dst_unused:UNUSED_PAD src0_sel:WORD_1 src1_sel:DWORD
	s_waitcnt vmcnt(18)
	v_lshrrev_b32_e32 v29, 16, v18
	v_mul_f16_sdwa v34, v13, v18 dst_sel:DWORD dst_unused:UNUSED_PAD src0_sel:WORD_1 src1_sel:DWORD
	v_pack_b32_f16 v5, v33, v5
	v_mul_f16_sdwa v35, v15, v31 dst_sel:DWORD dst_unused:UNUSED_PAD src0_sel:WORD_1 src1_sel:DWORD
	v_fma_f16 v31, v15, v31, -v32
	v_mul_f16_sdwa v12, v13, v29 dst_sel:DWORD dst_unused:UNUSED_PAD src0_sel:WORD_1 src1_sel:DWORD
	v_fma_f16 v16, v13, v29, -v34
	v_lshrrev_b32_e32 v29, 16, v20
	v_mul_f16_sdwa v32, v14, v20 dst_sel:DWORD dst_unused:UNUSED_PAD src0_sel:WORD_1 src1_sel:DWORD
	v_fmac_f16_e32 v35, v15, v17
	v_fmac_f16_e32 v12, v13, v18
	s_waitcnt vmcnt(17)
	v_lshrrev_b32_e32 v17, 16, v8
	v_mul_f16_sdwa v13, v14, v29 dst_sel:DWORD dst_unused:UNUSED_PAD src0_sel:WORD_1 src1_sel:DWORD
	s_waitcnt vmcnt(16)
	v_mul_f16_sdwa v18, v9, v8 dst_sel:DWORD dst_unused:UNUSED_PAD src0_sel:WORD_1 src1_sel:DWORD
	v_fma_f16 v15, v14, v29, -v32
	v_pack_b32_f16 v12, v12, v16
	v_pack_b32_f16 v29, v35, v31
	v_fmac_f16_e32 v13, v14, v20
	v_mul_f16_sdwa v14, v9, v17 dst_sel:DWORD dst_unused:UNUSED_PAD src0_sel:WORD_1 src1_sel:DWORD
	v_fma_f16 v16, v9, v17, -v18
	s_waitcnt vmcnt(14)
	v_lshrrev_b32_e32 v17, 16, v22
	v_mul_f16_sdwa v18, v21, v22 dst_sel:DWORD dst_unused:UNUSED_PAD src0_sel:WORD_1 src1_sel:DWORD
	ds_write2_b32 v38, v5, v12 offset1:80
	v_fmac_f16_e32 v14, v9, v8
	s_waitcnt vmcnt(12)
	v_lshrrev_b32_e32 v9, 16, v25
	v_mul_f16_sdwa v8, v21, v17 dst_sel:DWORD dst_unused:UNUSED_PAD src0_sel:WORD_1 src1_sel:DWORD
	v_mul_f16_sdwa v12, v24, v25 dst_sel:DWORD dst_unused:UNUSED_PAD src0_sel:WORD_1 src1_sel:DWORD
	v_pack_b32_f16 v5, v13, v15
	v_fma_f16 v13, v21, v17, -v18
	v_pack_b32_f16 v14, v14, v16
	v_fmac_f16_e32 v8, v21, v22
	v_mul_f16_sdwa v15, v24, v9 dst_sel:DWORD dst_unused:UNUSED_PAD src0_sel:WORD_1 src1_sel:DWORD
	v_fma_f16 v9, v24, v9, -v12
	ds_write2_b32 v38, v5, v14 offset0:160 offset1:240
	v_pack_b32_f16 v5, v8, v13
	v_fmac_f16_e32 v15, v24, v25
	v_pack_b32_f16 v9, v15, v9
	s_waitcnt vmcnt(11)
	v_lshrrev_b32_e32 v12, 16, v23
	s_waitcnt vmcnt(10)
	v_mul_f16_sdwa v16, v26, v23 dst_sel:DWORD dst_unused:UNUSED_PAD src0_sel:WORD_1 src1_sel:DWORD
	s_waitcnt vmcnt(9)
	v_lshrrev_b32_e32 v8, 16, v6
	s_waitcnt vmcnt(8)
	v_mul_f16_sdwa v14, v7, v6 dst_sel:DWORD dst_unused:UNUSED_PAD src0_sel:WORD_1 src1_sel:DWORD
	v_mul_f16_sdwa v13, v26, v12 dst_sel:DWORD dst_unused:UNUSED_PAD src0_sel:WORD_1 src1_sel:DWORD
	v_fma_f16 v12, v26, v12, -v16
	v_mul_f16_sdwa v16, v7, v8 dst_sel:DWORD dst_unused:UNUSED_PAD src0_sel:WORD_1 src1_sel:DWORD
	v_fma_f16 v8, v7, v8, -v14
	v_fmac_f16_e32 v13, v26, v23
	v_fmac_f16_e32 v16, v7, v6
	s_waitcnt vmcnt(6)
	v_lshrrev_b32_e32 v15, 16, v10
	v_mul_f16_sdwa v6, v27, v10 dst_sel:DWORD dst_unused:UNUSED_PAD src0_sel:WORD_1 src1_sel:DWORD
	v_pack_b32_f16 v7, v13, v12
	v_pack_b32_f16 v8, v16, v8
	v_mul_f16_sdwa v12, v27, v15 dst_sel:DWORD dst_unused:UNUSED_PAD src0_sel:WORD_1 src1_sel:DWORD
	s_waitcnt vmcnt(5)
	v_lshrrev_b32_e32 v13, 16, v11
	v_fma_f16 v6, v27, v15, -v6
	s_waitcnt vmcnt(4)
	v_mul_f16_sdwa v14, v28, v11 dst_sel:DWORD dst_unused:UNUSED_PAD src0_sel:WORD_1 src1_sel:DWORD
	s_waitcnt vmcnt(3)
	v_lshrrev_b32_e32 v15, 16, v2
	v_fmac_f16_e32 v12, v27, v10
	s_waitcnt vmcnt(2)
	v_lshrrev_b32_e32 v16, 16, v0
	v_mul_f16_sdwa v10, v28, v13 dst_sel:DWORD dst_unused:UNUSED_PAD src0_sel:WORD_1 src1_sel:DWORD
	v_fma_f16 v13, v28, v13, -v14
	s_waitcnt vmcnt(1)
	v_mul_f16_sdwa v14, v1, v2 dst_sel:DWORD dst_unused:UNUSED_PAD src0_sel:WORD_1 src1_sel:DWORD
	v_pack_b32_f16 v6, v12, v6
	v_mul_f16_sdwa v12, v1, v15 dst_sel:DWORD dst_unused:UNUSED_PAD src0_sel:WORD_1 src1_sel:DWORD
	s_waitcnt vmcnt(0)
	v_mul_f16_sdwa v17, v3, v16 dst_sel:DWORD dst_unused:UNUSED_PAD src0_sel:WORD_1 src1_sel:DWORD
	v_mul_f16_sdwa v18, v3, v0 dst_sel:DWORD dst_unused:UNUSED_PAD src0_sel:WORD_1 src1_sel:DWORD
	v_fmac_f16_e32 v10, v28, v11
	v_fma_f16 v11, v1, v15, -v14
	v_fmac_f16_e32 v12, v1, v2
	v_fmac_f16_e32 v17, v3, v0
	v_fma_f16 v0, v3, v16, -v18
	v_add_nc_u32_e32 v1, 0x800, v38
	v_pack_b32_f16 v2, v10, v13
	v_pack_b32_f16 v3, v12, v11
	v_add_nc_u32_e32 v10, 0xc00, v38
	v_pack_b32_f16 v0, v17, v0
	ds_write2_b32 v4, v5, v9 offset0:64 offset1:144
	ds_write2_b32 v30, v7, v8 offset0:96 offset1:176
	ds_write2_b32 v1, v29, v6 offset0:128 offset1:208
	ds_write2_b32 v10, v2, v3 offset0:32 offset1:112
	ds_write_b32 v38, v0 offset:3840
.LBB0_3:
	s_or_b32 exec_lo, exec_lo, s1
	v_mov_b32_e32 v0, 0
	s_waitcnt lgkmcnt(0)
	s_barrier
	buffer_gl0_inv
                                        ; implicit-def: $vgpr3
                                        ; implicit-def: $vgpr6
                                        ; implicit-def: $vgpr9
                                        ; implicit-def: $vgpr4
                                        ; implicit-def: $vgpr11
                                        ; implicit-def: $vgpr12
	s_and_saveexec_b32 s0, vcc_lo
	s_cbranch_execz .LBB0_5
; %bb.4:
	v_add_nc_u32_e32 v2, 0x400, v38
	v_add_nc_u32_e32 v3, 0x600, v38
	v_add_nc_u32_e32 v4, 0x800, v38
	v_add_nc_u32_e32 v5, 0xc00, v38
	ds_read2_b32 v[0:1], v38 offset1:80
	ds_read2_b32 v[10:11], v38 offset0:160 offset1:240
	ds_read2_b32 v[8:9], v2 offset0:64 offset1:144
	;; [unrolled: 1-line block ×5, first 2 shown]
	ds_read_b32 v12, v38 offset:3840
.LBB0_5:
	s_or_b32 exec_lo, exec_lo, s0
	s_waitcnt lgkmcnt(1)
	v_pk_add_f16 v23, v10, v5 neg_lo:[0,1] neg_hi:[0,1]
	v_pk_add_f16 v13, v5, v10
	v_pk_add_f16 v52, v1, v0
	v_mov_b32_e32 v14, 0xba95
	v_mov_b32_e32 v20, 0xbbf1
	v_mul_f16_e32 v15, 0xba95, v23
	v_lshrrev_b32_e32 v18, 16, v13
	v_mul_f16_e32 v22, 0xb3a8, v23
	v_mul_f16_e32 v21, 0xbb7b, v23
	;; [unrolled: 1-line block ×3, first 2 shown]
	v_pk_add_f16 v10, v10, v52
	v_fmamk_f16 v35, v18, 0x388b, v15
	v_fma_f16 v36, v18, 0x388b, -v15
	v_fmamk_f16 v42, v18, 0xbbc4, v22
	v_fma_f16 v43, v18, 0xbbc4, -v22
	v_pk_add_f16 v22, v11, v4 neg_lo:[0,1] neg_hi:[0,1]
	v_pk_add_f16 v15, v4, v11
	v_fmamk_f16 v37, v18, 0xb5ac, v21
	v_fma_f16 v41, v18, 0xb5ac, -v21
	v_mul_f16_e32 v21, 0x394e, v23
	v_fmamk_f16 v47, v18, 0x2fb7, v24
	v_lshrrev_b32_e32 v46, 16, v15
	v_fma_f16 v31, v18, 0x2fb7, -v24
	v_mul_f16_e32 v24, 0x3b7b, v22
	v_fmamk_f16 v44, v18, 0xb9fd, v21
	v_fma_f16 v45, v18, 0xb9fd, -v21
	v_mul_f16_e32 v21, 0xbbf1, v22
	v_mul_f16_e32 v18, 0xb3a8, v22
	;; [unrolled: 1-line block ×3, first 2 shown]
	v_fmamk_f16 v32, v46, 0xb5ac, v24
	v_fma_f16 v26, v46, 0xb5ac, -v24
	v_mul_f16_e32 v24, 0xba95, v22
	v_pk_add_f16 v11, v11, v10
	v_mul_f16_sdwa v33, v23, v14 dst_sel:DWORD dst_unused:UNUSED_PAD src0_sel:WORD_1 src1_sel:DWORD
	v_mov_b32_e32 v16, 0xbb7b
	v_mov_b32_e32 v17, 0xb94e
	v_mul_f16_sdwa v25, v22, v20 dst_sel:DWORD dst_unused:UNUSED_PAD src0_sel:WORD_1 src1_sel:DWORD
	v_fmamk_f16 v49, v46, 0x2fb7, v21
	v_fma_f16 v50, v46, 0x2fb7, -v21
	v_fmamk_f16 v29, v46, 0xbbc4, v18
	v_fma_f16 v51, v46, 0xbbc4, -v18
	v_fmamk_f16 v30, v46, 0x3b15, v27
	v_pk_add_f16 v21, v8, v7 neg_lo:[0,1] neg_hi:[0,1]
	v_pk_add_f16 v18, v7, v8
	v_fma_f16 v28, v46, 0x3b15, -v27
	v_fmamk_f16 v27, v46, 0x388b, v24
	v_fma_f16 v46, v46, 0x388b, -v24
	v_pk_add_f16 v24, v9, v6 neg_lo:[0,1] neg_hi:[0,1]
	v_pk_add_f16 v10, v6, v9
	v_pk_add_f16 v8, v8, v11
	s_waitcnt lgkmcnt(0)
	v_pk_add_f16 v76, v1, v12 neg_lo:[0,1] neg_hi:[0,1]
	v_pk_add_f16 v1, v12, v1
	v_fma_f16 v34, v13, 0x388b, -v33
	v_fma_f16 v48, v15, 0x2fb7, -v25
	v_mul_f16_sdwa v53, v21, v16 dst_sel:DWORD dst_unused:UNUSED_PAD src0_sel:WORD_1 src1_sel:DWORD
	v_lshrrev_b32_e32 v54, 16, v18
	v_mul_f16_e32 v55, 0xbb7b, v21
	v_mul_f16_e32 v56, 0x394e, v21
	v_mul_f16_sdwa v59, v24, v17 dst_sel:DWORD dst_unused:UNUSED_PAD src0_sel:WORD_1 src1_sel:DWORD
	v_pk_add_f16 v8, v9, v8
	v_lshrrev_b32_e32 v9, 16, v10
	v_mul_f16_e32 v62, 0xb94e, v24
	v_mov_b32_e32 v77, 0xb770
	v_lshrrev_b32_e32 v85, 16, v1
	v_mul_f16_e32 v86, 0xb770, v76
	v_mul_f16_sdwa v87, v76, v14 dst_sel:DWORD dst_unused:UNUSED_PAD src0_sel:WORD_1 src1_sel:DWORD
	v_fma_f16 v52, v18, 0xb5ac, -v53
	v_fmamk_f16 v57, v54, 0xb5ac, v55
	v_fmamk_f16 v58, v54, 0xb9fd, v56
	v_fma_f16 v11, v54, 0xb9fd, -v56
	v_mul_f16_e32 v56, 0x3770, v21
	v_mul_f16_e32 v60, 0xbbf1, v21
	v_fma_f16 v61, v10, 0xb9fd, -v59
	v_alignbit_b32 v34, v34, v6, 16
	v_alignbit_b32 v48, v48, v7, 16
	v_perm_b32 v6, v6, v35, 0x5040100
	v_perm_b32 v7, v7, v49, 0x5040100
	v_fmamk_f16 v35, v9, 0xb9fd, v62
	v_mul_f16_e32 v49, 0x33a8, v21
	v_mul_f16_e32 v63, 0x3bf1, v24
	v_mul_f16_e32 v65, 0xba95, v24
	v_mul_f16_e32 v67, 0x33a8, v24
	v_pk_add_f16 v68, v3, v2
	v_pk_add_f16 v69, v2, v3 neg_lo:[0,1] neg_hi:[0,1]
	v_mul_f16_e32 v70, 0x3770, v24
	v_mul_f16_sdwa v77, v76, v77 dst_sel:DWORD dst_unused:UNUSED_PAD src0_sel:WORD_1 src1_sel:DWORD
	v_fma_f16 v89, v85, 0x3b15, -v86
	v_fma_f16 v90, v1, 0x388b, -v87
	v_mul_f16_sdwa v91, v23, v16 dst_sel:DWORD dst_unused:UNUSED_PAD src0_sel:WORD_1 src1_sel:DWORD
	v_fma_f16 v55, v54, 0xb5ac, -v55
	v_alignbit_b32 v52, v52, v4, 16
	v_alignbit_b32 v61, v61, v5, 16
	v_perm_b32 v4, v4, v57, 0x5040100
	v_perm_b32 v5, v5, v35, 0x5040100
	v_fmamk_f16 v35, v54, 0x3b15, v56
	v_fma_f16 v56, v54, 0x3b15, -v56
	v_fmamk_f16 v57, v54, 0x2fb7, v60
	v_fma_f16 v60, v54, 0x2fb7, -v60
	;; [unrolled: 2-line block ×3, first 2 shown]
	v_fma_f16 v54, v9, 0xb9fd, -v62
	v_fmamk_f16 v62, v9, 0x2fb7, v63
	v_fma_f16 v63, v9, 0x2fb7, -v63
	v_fmamk_f16 v66, v9, 0x388b, v65
	;; [unrolled: 2-line block ×3, first 2 shown]
	v_lshrrev_b32_e32 v72, 16, v68
	v_mul_f16_e32 v73, 0xb3a8, v69
	v_fma_f16 v67, v9, 0xbbc4, -v67
	v_fmamk_f16 v74, v9, 0x3b15, v70
	v_fma_f16 v9, v9, 0x3b15, -v70
	v_mul_f16_e32 v70, 0x3770, v69
	v_mul_f16_e32 v79, 0xb94e, v69
	;; [unrolled: 1-line block ×4, first 2 shown]
	v_fmamk_f16 v84, v1, 0x3b15, v77
	v_mul_f16_e32 v92, 0xba95, v76
	v_add_f16_sdwa v89, v89, v0 dst_sel:DWORD dst_unused:UNUSED_PAD src0_sel:DWORD src1_sel:WORD_1
	v_add_f16_e32 v90, v90, v0
	v_fma_f16 v93, v13, 0xb5ac, -v91
	v_fmamk_f16 v75, v72, 0xbbc4, v73
	v_fma_f16 v73, v72, 0xbbc4, -v73
	v_fmamk_f16 v78, v72, 0x3b15, v70
	;; [unrolled: 2-line block ×5, first 2 shown]
	v_fmac_f16_e32 v33, 0x388b, v13
	v_add_f16_e32 v84, v84, v0
	v_fmamk_f16 v94, v85, 0x388b, v92
	v_fma_f16 v72, v72, 0xb5ac, -v82
	v_add_f16_e32 v36, v36, v89
	v_add_f16_e32 v82, v93, v90
	v_mul_f16_sdwa v89, v76, v20 dst_sel:DWORD dst_unused:UNUSED_PAD src0_sel:WORD_1 src1_sel:DWORD
	v_mov_b32_e32 v90, 0xb3a8
	v_add_f16_e32 v33, v33, v84
	v_add_f16_sdwa v84, v94, v0 dst_sel:DWORD dst_unused:UNUSED_PAD src0_sel:DWORD src1_sel:WORD_1
	v_fmac_f16_e32 v87, 0x388b, v1
	v_fma_f16 v92, v85, 0x388b, -v92
	v_fma_f16 v93, v1, 0x2fb7, -v89
	v_mul_f16_sdwa v94, v23, v90 dst_sel:DWORD dst_unused:UNUSED_PAD src0_sel:WORD_1 src1_sel:DWORD
	v_fmac_f16_e32 v91, 0xb5ac, v13
	v_mul_f16_e32 v95, 0xbbf1, v76
	v_add_f16_e32 v87, v87, v0
	v_add_f16_sdwa v92, v92, v0 dst_sel:DWORD dst_unused:UNUSED_PAD src0_sel:DWORD src1_sel:WORD_1
	v_add_f16_e32 v93, v93, v0
	v_fma_f16 v96, v13, 0xbbc4, -v94
	v_fmamk_f16 v97, v85, 0x2fb7, v95
	v_add_f16_e32 v37, v37, v84
	v_add_f16_e32 v84, v91, v87
	;; [unrolled: 1-line block ×4, first 2 shown]
	v_fmac_f16_e32 v89, 0x2fb7, v1
	v_mul_f16_sdwa v92, v76, v16 dst_sel:DWORD dst_unused:UNUSED_PAD src0_sel:WORD_1 src1_sel:DWORD
	v_mov_b32_e32 v93, 0x394e
	v_mul_f16_e32 v96, 0xbb7b, v76
	v_fma_f16 v95, v85, 0x2fb7, -v95
	v_add_f16_sdwa v91, v97, v0 dst_sel:DWORD dst_unused:UNUSED_PAD src0_sel:DWORD src1_sel:WORD_1
	v_fmac_f16_e32 v94, 0xbbc4, v13
	v_fma_f16 v97, v1, 0xb5ac, -v92
	v_mul_f16_sdwa v98, v23, v93 dst_sel:DWORD dst_unused:UNUSED_PAD src0_sel:WORD_1 src1_sel:DWORD
	v_fmamk_f16 v99, v85, 0xb5ac, v96
	v_add_f16_e32 v89, v89, v0
	v_add_f16_sdwa v95, v95, v0 dst_sel:DWORD dst_unused:UNUSED_PAD src0_sel:DWORD src1_sel:WORD_1
	v_add_f16_e32 v97, v97, v0
	v_fma_f16 v100, v13, 0xb9fd, -v98
	v_add_f16_sdwa v99, v99, v0 dst_sel:DWORD dst_unused:UNUSED_PAD src0_sel:DWORD src1_sel:WORD_1
	v_add_f16_e32 v89, v94, v89
	v_add_f16_e32 v43, v43, v95
	v_mul_f16_sdwa v94, v76, v17 dst_sel:DWORD dst_unused:UNUSED_PAD src0_sel:WORD_1 src1_sel:DWORD
	v_mov_b32_e32 v95, 0x3bf1
	v_fmac_f16_e32 v92, 0xb5ac, v1
	v_add_f16_e32 v42, v42, v91
	v_add_f16_e32 v91, v100, v97
	;; [unrolled: 1-line block ×3, first 2 shown]
	v_fmac_f16_e32 v98, 0xb9fd, v13
	v_fma_f16 v96, v85, 0xb5ac, -v96
	v_fma_f16 v97, v1, 0xb9fd, -v94
	v_mul_f16_sdwa v99, v23, v95 dst_sel:DWORD dst_unused:UNUSED_PAD src0_sel:WORD_1 src1_sel:DWORD
	v_add_f16_e32 v92, v92, v0
	v_mul_f16_e32 v100, 0xb94e, v76
	v_add_f16_sdwa v96, v96, v0 dst_sel:DWORD dst_unused:UNUSED_PAD src0_sel:DWORD src1_sel:WORD_1
	v_add_f16_e32 v97, v97, v0
	v_fma_f16 v101, v13, 0x2fb7, -v99
	v_add_f16_e32 v92, v98, v92
	v_fmamk_f16 v98, v85, 0xb9fd, v100
	v_add_f16_e32 v45, v45, v96
	v_pk_mul_f16 v76, 0xb3a8, v76 op_sel_hi:[0,1]
	v_add_f16_e32 v96, v101, v97
	v_fmac_f16_e32 v25, 0x2fb7, v15
	v_add_f16_sdwa v97, v98, v0 dst_sel:DWORD dst_unused:UNUSED_PAD src0_sel:DWORD src1_sel:WORD_1
	v_fma_f16 v98, v85, 0xb9fd, -v100
	v_pk_fma_f16 v100, 0xbbc4, v1, v76 op_sel:[0,0,1] op_sel_hi:[0,1,0] neg_lo:[0,0,1] neg_hi:[0,0,1]
	v_add_f16_e32 v36, v50, v36
	v_add_f16_e32 v25, v25, v33
	;; [unrolled: 1-line block ×3, first 2 shown]
	v_add_f16_sdwa v97, v98, v0 dst_sel:DWORD dst_unused:UNUSED_PAD src0_sel:DWORD src1_sel:WORD_1
	v_pk_add_f16 v98, v100, v0
	v_mul_f16_sdwa v100, v22, v90 dst_sel:DWORD dst_unused:UNUSED_PAD src0_sel:WORD_1 src1_sel:DWORD
	v_add_f16_e32 v32, v32, v42
	v_add_f16_e32 v27, v27, v47
	;; [unrolled: 1-line block ×3, first 2 shown]
	v_mov_b32_e32 v97, 0x3b7b
	v_fma_f16 v33, v15, 0xbbc4, -v100
	v_fmac_f16_e32 v100, 0xbbc4, v15
	v_mul_f16_sdwa v47, v21, v93 dst_sel:DWORD dst_unused:UNUSED_PAD src0_sel:WORD_1 src1_sel:DWORD
	v_add_f16_e32 v29, v29, v37
	v_mul_f16_sdwa v50, v22, v97 dst_sel:DWORD dst_unused:UNUSED_PAD src0_sel:WORD_1 src1_sel:DWORD
	v_mov_b32_e32 v97, 0x3770
	v_add_f16_e32 v33, v33, v82
	v_add_f16_e32 v82, v100, v84
	;; [unrolled: 1-line block ×3, first 2 shown]
	v_fma_f16 v37, v15, 0xb5ac, -v50
	v_mul_f16_sdwa v84, v22, v97 dst_sel:DWORD dst_unused:UNUSED_PAD src0_sel:WORD_1 src1_sel:DWORD
	v_add_f16_e32 v31, v46, v31
	v_fma_f16 v46, v18, 0xb9fd, -v47
	v_add_f16_e32 v41, v51, v41
	v_add_f16_e32 v37, v37, v87
	v_fma_f16 v42, v15, 0x3b15, -v84
	v_fmac_f16_e32 v84, 0x3b15, v15
	v_add_f16_e32 v33, v46, v33
	v_add_f16_e32 v32, v35, v32
	v_mul_f16_e32 v35, 0x3b15, v85
	v_fmac_f16_e32 v53, 0xb5ac, v18
	v_add_f16_e32 v44, v84, v92
	v_mul_f16_sdwa v84, v21, v97 dst_sel:DWORD dst_unused:UNUSED_PAD src0_sel:WORD_1 src1_sel:DWORD
	v_add_f16_e32 v36, v55, v36
	v_add_f16_e32 v11, v11, v41
	v_alignbit_b32 v41, s0, v8, 16
	v_alignbit_b32 v55, v77, v2, 16
	v_fma_f16 v46, v18, 0x3b15, -v84
	v_pack_b32_f16 v8, v35, v8
	v_add_f16_e32 v25, v53, v25
	v_mov_b32_e32 v53, 0x3b15
	v_fmac_f16_e32 v94, 0xb9fd, v1
	v_add_f16_e32 v37, v46, v37
	v_alignbit_b32 v46, s0, v2, 16
	v_perm_b32 v2, v2, v86, 0x5040100
	v_mul_f16_sdwa v53, v1, v53 dst_sel:WORD_1 dst_unused:UNUSED_PAD src0_sel:DWORD src1_sel:DWORD
	v_mul_f16_sdwa v20, v21, v20 dst_sel:DWORD dst_unused:UNUSED_PAD src0_sel:WORD_1 src1_sel:DWORD
	v_fmac_f16_e32 v99, 0x2fb7, v13
	v_pk_add_f16 v41, v41, v46
	v_pk_add_f16 v2, v2, v8
	v_alignbit_b32 v8, v0, v3, 16
	v_alignbit_b32 v3, v3, v0, 16
	v_pk_add_f16 v46, v53, v55 neg_lo:[0,1] neg_hi:[0,1]
	v_add_f16_e32 v94, v94, v0
	v_mul_f16_sdwa v51, v22, v14 dst_sel:DWORD dst_unused:UNUSED_PAD src0_sel:WORD_1 src1_sel:DWORD
	v_add_f16_e32 v42, v42, v91
	v_pk_add_f16 v2, v2, v3
	v_bfi_b32 v35, 0xffff, v41, v46
	v_fma_f16 v41, v18, 0x2fb7, -v20
	v_mov_b32_e32 v46, 0x33a8
	v_add_f16_e32 v94, v99, v94
	v_pk_add_f16 v2, v6, v2
	v_add_f16_e32 v26, v26, v43
	v_fma_f16 v43, v15, 0x388b, -v51
	v_fmac_f16_e32 v51, 0x388b, v15
	v_add_f16_e32 v41, v41, v42
	v_pk_add_f16 v2, v7, v2
	v_mul_f16_sdwa v42, v21, v46 dst_sel:DWORD dst_unused:UNUSED_PAD src0_sel:WORD_1 src1_sel:DWORD
	v_pk_add_f16 v8, v8, v35
	v_pk_mul_f16 v23, 0x3770, v23 op_sel_hi:[0,1]
	v_fmac_f16_e32 v50, 0xb5ac, v15
	v_pk_add_f16 v2, v4, v2
	v_mul_f16_sdwa v4, v24, v95 dst_sel:DWORD dst_unused:UNUSED_PAD src0_sel:WORD_1 src1_sel:DWORD
	v_add_f16_e32 v51, v51, v94
	v_fma_f16 v3, v18, 0xbbc4, -v42
	v_pk_add_f16 v8, v34, v8
	v_fmac_f16_e32 v42, 0xbbc4, v18
	v_pk_add_f16 v2, v5, v2
	v_fma_f16 v5, v10, 0x2fb7, -v4
	v_mul_f16_sdwa v14, v24, v14 dst_sel:DWORD dst_unused:UNUSED_PAD src0_sel:WORD_1 src1_sel:DWORD
	v_pk_fma_f16 v1, 0xbbc4, v1, v76 op_sel:[0,0,1] op_sel_hi:[0,1,0]
	v_pk_fma_f16 v99, 0x3b15, v13, v23 op_sel:[0,0,1] op_sel_hi:[0,1,0] neg_lo:[0,0,1] neg_hi:[0,0,1]
	v_add_f16_e32 v50, v50, v89
	v_pk_mul_f16 v22, 0xb94e, v22 op_sel_hi:[0,1]
	v_fmac_f16_e32 v84, 0x3b15, v18
	v_add_f16_e32 v26, v56, v26
	v_fmac_f16_e32 v20, 0x2fb7, v18
	v_pk_add_f16 v8, v48, v8
	v_add_f16_e32 v7, v42, v51
	v_add_f16_e32 v5, v5, v33
	v_fma_f16 v33, v10, 0x388b, -v14
	v_mul_f16_sdwa v35, v24, v46 dst_sel:DWORD dst_unused:UNUSED_PAD src0_sel:WORD_1 src1_sel:DWORD
	v_mul_f16_sdwa v42, v69, v90 dst_sel:DWORD dst_unused:UNUSED_PAD src0_sel:WORD_1 src1_sel:DWORD
	v_pk_add_f16 v0, v1, v0
	v_pk_fma_f16 v1, 0x3b15, v13, v23 op_sel:[0,0,1] op_sel_hi:[0,1,0]
	v_pk_add_f16 v98, v99, v98
	v_add_f16_e32 v28, v28, v45
	v_add_f16_e32 v43, v43, v96
	v_pk_fma_f16 v45, 0xb9fd, v15, v22 op_sel:[0,0,1] op_sel_hi:[0,1,0] neg_lo:[0,0,1] neg_hi:[0,0,1]
	v_fmac_f16_e32 v47, 0xb9fd, v18
	v_add_f16_e32 v50, v84, v50
	v_add_f16_e32 v20, v20, v44
	;; [unrolled: 1-line block ×3, first 2 shown]
	v_pk_mul_f16 v27, 0x3a95, v21 op_sel_hi:[0,1]
	v_pk_add_f16 v8, v52, v8
	v_add_f16_e32 v34, v54, v36
	v_fmac_f16_e32 v14, 0x388b, v10
	v_add_f16_e32 v36, v33, v37
	v_mul_f16_sdwa v33, v24, v97 dst_sel:DWORD dst_unused:UNUSED_PAD src0_sel:WORD_1 src1_sel:DWORD
	v_add_f16_e32 v37, v66, v32
	v_fma_f16 v32, v10, 0xbbc4, -v35
	v_add_f16_e32 v44, v65, v26
	v_fma_f16 v26, v68, 0xbbc4, -v42
	v_pk_add_f16 v0, v1, v0
	v_pk_fma_f16 v1, 0xb9fd, v15, v22 op_sel:[0,0,1] op_sel_hi:[0,1,0]
	v_pk_add_f16 v45, v45, v98
	v_add_f16_e32 v47, v47, v82
	v_add_f16_e32 v3, v3, v43
	v_add_f16_e32 v21, v49, v31
	v_pk_fma_f16 v31, 0x388b, v18, v27 op_sel:[0,0,1] op_sel_hi:[0,1,0] neg_lo:[0,0,1] neg_hi:[0,0,1]
	v_pk_add_f16 v8, v61, v8
	v_fmac_f16_e32 v4, 0x2fb7, v10
	v_add_f16_e32 v43, v14, v50
	v_fma_f16 v14, v10, 0x3b15, -v33
	v_add_f16_e32 v41, v32, v41
	v_mov_b32_e32 v32, 0x3a95
	v_pk_mul_f16 v24, 0xbb7b, v24 op_sel_hi:[0,1]
	v_alignbit_b32 v26, v26, v12, 16
	v_perm_b32 v12, v12, v75, 0x5040100
	v_pk_add_f16 v0, v1, v0
	v_pk_fma_f16 v1, 0x388b, v18, v27 op_sel:[0,0,1] op_sel_hi:[0,1,0]
	v_add_f16_e32 v29, v58, v29
	v_add_f16_e32 v30, v57, v30
	;; [unrolled: 1-line block ×3, first 2 shown]
	v_fmac_f16_e32 v59, 0xb9fd, v10
	v_pk_add_f16 v31, v31, v45
	v_add_f16_e32 v4, v4, v47
	v_fmac_f16_e32 v35, 0xbbc4, v10
	v_fmac_f16_e32 v33, 0x3b15, v10
	v_mul_f16_sdwa v45, v69, v97 dst_sel:DWORD dst_unused:UNUSED_PAD src0_sel:WORD_1 src1_sel:DWORD
	v_mul_f16_sdwa v17, v69, v17 dst_sel:DWORD dst_unused:UNUSED_PAD src0_sel:WORD_1 src1_sel:DWORD
	v_mul_f16_sdwa v47, v69, v32 dst_sel:DWORD dst_unused:UNUSED_PAD src0_sel:WORD_1 src1_sel:DWORD
	v_mul_f16_sdwa v16, v69, v16 dst_sel:DWORD dst_unused:UNUSED_PAD src0_sel:WORD_1 src1_sel:DWORD
	v_add_f16_e32 v3, v14, v3
	v_pk_fma_f16 v14, 0xb5ac, v10, v24 op_sel:[0,0,1] op_sel_hi:[0,1,0] neg_lo:[0,0,1] neg_hi:[0,0,1]
	v_pk_add_f16 v32, v26, v8
	v_pk_add_f16 v26, v12, v2
	v_pk_add_f16 v0, v1, v0
	v_pk_fma_f16 v1, 0xb5ac, v10, v24 op_sel:[0,0,1] op_sel_hi:[0,1,0]
	v_pk_mul_f16 v2, 0x3bf1, v69 op_sel_hi:[0,1]
	v_add_f16_e32 v25, v59, v25
	v_add_f16_e32 v29, v62, v29
	;; [unrolled: 1-line block ×3, first 2 shown]
	v_fmac_f16_e32 v42, 0xbbc4, v68
	v_add_f16_e32 v30, v71, v30
	v_fma_f16 v46, v68, 0x3b15, -v45
	v_fmac_f16_e32 v45, 0x3b15, v68
	v_add_f16_e32 v48, v35, v20
	v_fma_f16 v20, v68, 0xb9fd, -v17
	;; [unrolled: 3-line block ×3, first 2 shown]
	v_fmac_f16_e32 v47, 0x388b, v68
	v_fma_f16 v50, v68, 0xb5ac, -v16
	v_fmac_f16_e32 v16, 0xb5ac, v68
	v_add_f16_e32 v6, v74, v6
	v_add_f16_e32 v7, v33, v7
	;; [unrolled: 1-line block ×3, first 2 shown]
	v_pk_add_f16 v31, v14, v31
	v_pk_add_f16 v0, v1, v0
	v_pk_fma_f16 v1, 0x2fb7, v68, v2 op_sel:[0,0,1] op_sel_hi:[0,1,0]
	v_pk_fma_f16 v2, 0x2fb7, v68, v2 op_sel:[0,0,1] op_sel_hi:[0,1,0] neg_lo:[0,0,1] neg_hi:[0,0,1]
	v_add_f16_e32 v14, v42, v25
	v_add_f16_e32 v33, v73, v34
	;; [unrolled: 1-line block ×18, first 2 shown]
	v_pk_add_f16 v27, v1, v0
	v_pk_add_f16 v48, v2, v31
	v_mul_lo_u16 v43, v40, 13
	s_barrier
	buffer_gl0_inv
	s_and_saveexec_b32 s0, vcc_lo
	s_cbranch_execz .LBB0_7
; %bb.6:
	v_mov_b32_e32 v0, 2
	v_alignbit_b32 v1, v26, v32, 16
	v_alignbit_b32 v2, v32, v26, 16
	v_perm_b32 v3, v37, v13, 0x5040100
	v_perm_b32 v4, v35, v12, 0x5040100
	v_lshlrev_b32_sdwa v0, v0, v43 dst_sel:DWORD dst_unused:UNUSED_PAD src0_sel:DWORD src1_sel:WORD_0
	v_perm_b32 v5, v47, v23, 0x5040100
	v_perm_b32 v6, v45, v22, 0x5040100
	v_bfi_b32 v7, 0xffff, v27, v48
	v_perm_b32 v8, v36, v20, 0x5040100
	ds_write2_b32 v0, v2, v1 offset1:1
	ds_write2_b32 v0, v4, v3 offset0:2 offset1:3
	v_bfi_b32 v1, 0xffff, v48, v27
	v_perm_b32 v2, v44, v25, 0x5040100
	v_perm_b32 v3, v46, v24, 0x5040100
	;; [unrolled: 1-line block ×4, first 2 shown]
	ds_write2_b32 v0, v6, v5 offset0:4 offset1:5
	ds_write2_b32 v0, v1, v7 offset0:6 offset1:7
	;; [unrolled: 1-line block ×4, first 2 shown]
	ds_write_b32 v0, v9 offset:48
.LBB0_7:
	s_or_b32 exec_lo, exec_lo, s0
	s_clause 0x1
	s_load_dwordx2 s[8:9], s[4:5], 0x20
	s_load_dwordx2 s[2:3], s[4:5], 0x8
	v_cmp_gt_u16_e64 s0, 0x41, v40
	v_lshrrev_b32_e32 v29, 16, v32
	v_lshrrev_b32_e32 v51, 16, v27
	s_waitcnt lgkmcnt(0)
	s_barrier
	buffer_gl0_inv
                                        ; implicit-def: $vgpr31
                                        ; implicit-def: $vgpr49
                                        ; implicit-def: $vgpr50
                                        ; implicit-def: $vgpr52
	s_and_saveexec_b32 s1, s0
	s_cbranch_execz .LBB0_9
; %bb.8:
	v_add_nc_u32_e32 v0, 0x400, v38
	v_add_nc_u32_e32 v1, 0x800, v38
	;; [unrolled: 1-line block ×3, first 2 shown]
	ds_read2_b32 v[28:29], v38 offset1:65
	ds_read2_b32 v[12:13], v38 offset0:130 offset1:195
	ds_read2_b32 v[22:23], v0 offset0:4 offset1:69
	;; [unrolled: 1-line block ×7, first 2 shown]
	s_waitcnt lgkmcnt(7)
	v_lshrrev_b32_e32 v32, 16, v28
	s_waitcnt lgkmcnt(6)
	v_lshrrev_b32_e32 v35, 16, v12
	v_lshrrev_b32_e32 v37, 16, v13
	s_waitcnt lgkmcnt(5)
	v_lshrrev_b32_e32 v45, 16, v22
	;; [unrolled: 3-line block ×3, first 2 shown]
	s_waitcnt lgkmcnt(3)
	v_lshrrev_b32_e32 v46, 16, v24
	v_lshrrev_b32_e32 v44, 16, v25
	s_waitcnt lgkmcnt(2)
	v_lshrrev_b32_e32 v36, 16, v20
	v_lshrrev_b32_e32 v34, 16, v21
	;; [unrolled: 3-line block ×4, first 2 shown]
	v_bfi_b32 v48, 0xffff, v26, v27
	v_alignbit_b32 v26, v28, v29, 16
.LBB0_9:
	s_or_b32 exec_lo, exec_lo, s1
	v_and_b32_e32 v0, 0xff, v40
	v_lshrrev_b32_e32 v28, 16, v48
	v_lshrrev_b32_e32 v53, 16, v26
	v_mul_lo_u16 v0, 0x4f, v0
	v_lshrrev_b16 v42, 10, v0
	v_mul_lo_u16 v0, v42, 13
	v_sub_nc_u16 v0, v40, v0
	v_and_b32_e32 v41, 0xff, v0
	v_mad_u64_u32 v[16:17], null, v41, 60, s[2:3]
	s_clause 0x3
	global_load_dwordx4 v[0:3], v[16:17], off
	global_load_dwordx4 v[4:7], v[16:17], off offset:16
	global_load_dwordx4 v[8:11], v[16:17], off offset:32
	global_load_dwordx3 v[16:18], v[16:17], off offset:48
	s_waitcnt vmcnt(0)
	s_barrier
	buffer_gl0_inv
	v_mul_f16_sdwa v54, v26, v0 dst_sel:DWORD dst_unused:UNUSED_PAD src0_sel:DWORD src1_sel:WORD_1
	v_mul_f16_sdwa v55, v29, v0 dst_sel:DWORD dst_unused:UNUSED_PAD src0_sel:DWORD src1_sel:WORD_1
	;; [unrolled: 1-line block ×30, first 2 shown]
	v_fma_f16 v29, v29, v0, -v54
	v_fmac_f16_e32 v55, v26, v0
	v_fma_f16 v12, v12, v1, -v56
	v_fmac_f16_e32 v57, v35, v1
	;; [unrolled: 2-line block ×15, first 2 shown]
	v_sub_f16_e32 v24, v53, v24
	v_sub_f16_e32 v31, v32, v69
	;; [unrolled: 1-line block ×16, first 2 shown]
	v_fma_f16 v32, v32, 2.0, -v31
	v_fma_f16 v22, v22, 2.0, -v14
	v_fma_f16 v47, v61, 2.0, -v33
	v_fma_f16 v48, v57, 2.0, -v34
	v_fma_f16 v26, v26, 2.0, -v28
	v_fma_f16 v49, v65, 2.0, -v35
	v_fma_f16 v50, v55, 2.0, -v36
	v_fma_f16 v23, v23, 2.0, -v15
	v_fma_f16 v51, v63, 2.0, -v37
	v_fma_f16 v27, v27, 2.0, -v30
	v_sub_f16_e32 v33, v24, v33
	v_add_f16_e32 v54, v31, v14
	v_sub_f16_e32 v14, v20, v35
	v_add_f16_e32 v28, v34, v28
	;; [unrolled: 2-line block ×4, first 2 shown]
	v_fma_f16 v46, v53, 2.0, -v24
	v_fma_f16 v12, v12, 2.0, -v20
	;; [unrolled: 1-line block ×6, first 2 shown]
	v_sub_f16_e32 v45, v32, v47
	v_fma_f16 v24, v24, 2.0, -v33
	v_fma_f16 v31, v31, 2.0, -v54
	v_sub_f16_e32 v47, v48, v49
	v_fma_f16 v20, v20, 2.0, -v14
	v_fma_f16 v34, v34, 2.0, -v28
	;; [unrolled: 3-line block ×3, first 2 shown]
	v_fma_f16 v21, v21, 2.0, -v15
	v_fma_f16 v44, v44, 2.0, -v30
	v_sub_f16_e32 v22, v46, v22
	v_sub_f16_e32 v26, v12, v26
	;; [unrolled: 1-line block ×5, first 2 shown]
	v_fmamk_f16 v56, v14, 0x39a8, v33
	v_fmamk_f16 v57, v28, 0x39a8, v54
	;; [unrolled: 1-line block ×8, first 2 shown]
	v_fma_f16 v53, v46, 2.0, -v22
	v_fma_f16 v32, v32, 2.0, -v45
	;; [unrolled: 1-line block ×8, first 2 shown]
	v_sub_f16_e32 v47, v22, v47
	v_add_f16_e32 v62, v45, v26
	v_fmac_f16_e32 v56, 0xb9a8, v28
	v_fmac_f16_e32 v57, 0x39a8, v14
	v_sub_f16_e32 v26, v23, v36
	v_add_f16_e32 v27, v49, v27
	v_fmac_f16_e32 v58, 0xb9a8, v30
	v_fmac_f16_e32 v59, 0x39a8, v15
	;; [unrolled: 1-line block ×6, first 2 shown]
	v_sub_f16_e32 v14, v53, v12
	v_sub_f16_e32 v15, v32, v46
	v_fma_f16 v28, v22, 2.0, -v47
	v_fma_f16 v12, v45, 2.0, -v62
	;; [unrolled: 1-line block ×4, first 2 shown]
	v_sub_f16_e32 v20, v29, v50
	v_sub_f16_e32 v30, v48, v52
	v_fma_f16 v52, v23, 2.0, -v26
	v_fma_f16 v49, v49, 2.0, -v27
	;; [unrolled: 1-line block ×4, first 2 shown]
	v_fmamk_f16 v22, v26, 0x39a8, v47
	v_fmamk_f16 v46, v27, 0x39a8, v62
	;; [unrolled: 1-line block ×4, first 2 shown]
	v_fma_f16 v37, v24, 2.0, -v60
	v_fma_f16 v36, v31, 2.0, -v61
	;; [unrolled: 1-line block ×4, first 2 shown]
	v_fmamk_f16 v21, v63, 0x361f, v60
	v_fmamk_f16 v44, v64, 0x361f, v61
	v_fma_f16 v34, v53, 2.0, -v14
	v_fma_f16 v35, v32, 2.0, -v15
	;; [unrolled: 1-line block ×4, first 2 shown]
	v_fmamk_f16 v31, v52, 0xb9a8, v28
	v_fmamk_f16 v51, v49, 0xb9a8, v12
	v_fmamk_f16 v32, v54, 0xb61f, v33
	v_fmamk_f16 v53, v65, 0xb61f, v13
	v_fmac_f16_e32 v22, 0xb9a8, v27
	v_fmac_f16_e32 v46, 0x39a8, v26
	;; [unrolled: 1-line block ×4, first 2 shown]
	v_fmamk_f16 v27, v66, 0xbb64, v37
	v_fmamk_f16 v50, v67, 0xbb64, v36
	v_fmac_f16_e32 v21, 0xbb64, v64
	v_fmac_f16_e32 v44, 0x3b64, v63
	v_sub_f16_e32 v30, v14, v30
	v_add_f16_e32 v55, v15, v20
	v_sub_f16_e32 v26, v34, v24
	v_sub_f16_e32 v48, v35, v29
	v_fmac_f16_e32 v31, 0xb9a8, v49
	v_fmac_f16_e32 v51, 0x39a8, v52
	;; [unrolled: 1-line block ×4, first 2 shown]
	v_fma_f16 v24, v47, 2.0, -v22
	v_fma_f16 v20, v62, 2.0, -v46
	;; [unrolled: 1-line block ×3, first 2 shown]
	v_fmac_f16_e32 v27, 0xb61f, v67
	v_fmac_f16_e32 v50, 0x361f, v66
	v_fma_f16 v29, v60, 2.0, -v21
	v_fma_f16 v49, v61, 2.0, -v44
	;; [unrolled: 1-line block ×3, first 2 shown]
	s_and_saveexec_b32 s1, s0
	s_cbranch_execz .LBB0_11
; %bb.10:
	v_mov_b32_e32 v52, 0xd0
	v_fma_f16 v37, v37, 2.0, -v27
	v_fma_f16 v34, v34, 2.0, -v26
	;; [unrolled: 1-line block ×4, first 2 shown]
	v_mul_u32_u24_sdwa v52, v42, v52 dst_sel:DWORD dst_unused:UNUSED_PAD src0_sel:WORD_0 src1_sel:DWORD
	v_fma_f16 v33, v33, 2.0, -v32
	v_fma_f16 v28, v28, 2.0, -v31
	;; [unrolled: 1-line block ×4, first 2 shown]
	v_or_b32_e32 v52, v52, v41
	v_fma_f16 v14, v14, 2.0, -v30
	v_fma_f16 v15, v15, 2.0, -v55
	v_pack_b32_f16 v34, v34, v35
	v_pack_b32_f16 v35, v37, v36
	v_lshlrev_b32_e32 v36, 2, v52
	v_pack_b32_f16 v12, v28, v12
	v_pack_b32_f16 v13, v33, v13
	v_perm_b32 v28, v49, v29, 0x5040100
	v_pack_b32_f16 v14, v14, v15
	ds_write2_b32 v36, v34, v35 offset1:13
	ds_write2_b32 v36, v12, v13 offset0:26 offset1:39
	ds_write2_b32 v36, v14, v28 offset0:52 offset1:65
	v_perm_b32 v12, v20, v24, 0x5040100
	v_perm_b32 v13, v47, v25, 0x5040100
	;; [unrolled: 1-line block ×10, first 2 shown]
	ds_write2_b32 v36, v12, v13 offset0:78 offset1:91
	ds_write2_b32 v36, v14, v15 offset0:104 offset1:117
	;; [unrolled: 1-line block ×5, first 2 shown]
.LBB0_11:
	s_or_b32 exec_lo, exec_lo, s1
	v_lshlrev_b32_e32 v12, 4, v40
	s_load_dwordx4 s[20:23], s[8:9], 0x0
	s_waitcnt lgkmcnt(0)
	s_barrier
	buffer_gl0_inv
	global_load_dwordx4 v[12:15], v12, s[2:3] offset:780
	v_add_nc_u32_e32 v37, 0x600, v38
	ds_read2_b32 v[33:34], v38 offset1:208
	ds_read2_b32 v[35:36], v37 offset0:32 offset1:240
	ds_read_b32 v28, v38 offset:3328
	s_waitcnt lgkmcnt(2)
	v_lshrrev_b32_e32 v52, 16, v34
	s_waitcnt lgkmcnt(1)
	v_lshrrev_b32_e32 v56, 16, v35
	v_lshrrev_b32_e32 v58, 16, v36
	s_waitcnt lgkmcnt(0)
	v_lshrrev_b32_e32 v57, 16, v28
	v_lshrrev_b32_e32 v54, 16, v33
	s_waitcnt vmcnt(0)
	v_mul_f16_sdwa v59, v52, v12 dst_sel:DWORD dst_unused:UNUSED_PAD src0_sel:DWORD src1_sel:WORD_1
	v_mul_f16_sdwa v61, v56, v13 dst_sel:DWORD dst_unused:UNUSED_PAD src0_sel:DWORD src1_sel:WORD_1
	;; [unrolled: 1-line block ×8, first 2 shown]
	v_fma_f16 v34, v34, v12, -v59
	v_fma_f16 v35, v35, v13, -v61
	v_fmac_f16_e32 v62, v56, v13
	v_fma_f16 v36, v36, v14, -v63
	v_fmac_f16_e32 v64, v58, v14
	v_fmac_f16_e32 v60, v52, v12
	;; [unrolled: 1-line block ×3, first 2 shown]
	v_fma_f16 v56, v28, v15, -v65
	v_add_f16_e32 v28, v33, v34
	v_add_f16_e32 v52, v35, v36
	;; [unrolled: 1-line block ×3, first 2 shown]
	v_sub_f16_e32 v57, v34, v35
	v_sub_f16_e32 v58, v56, v36
	v_add_f16_e32 v63, v34, v56
	v_add_f16_e32 v68, v54, v60
	v_add_f16_e32 v73, v60, v66
	v_sub_f16_e32 v59, v60, v66
	v_sub_f16_e32 v65, v35, v34
	;; [unrolled: 1-line block ×6, first 2 shown]
	v_add_f16_e32 v35, v28, v35
	v_fma_f16 v28, -0.5, v52, v33
	v_fma_f16 v52, -0.5, v69, v54
	v_sub_f16_e32 v61, v62, v64
	v_add_f16_e32 v75, v57, v58
	v_fmac_f16_e32 v33, -0.5, v63
	v_add_f16_e32 v57, v68, v62
	v_fmac_f16_e32 v54, -0.5, v73
	v_sub_f16_e32 v60, v62, v60
	v_add_f16_e32 v62, v34, v72
	v_add_f16_e32 v34, v35, v36
	v_fmamk_f16 v35, v59, 0x3b9c, v28
	v_fmamk_f16 v58, v70, 0xbb9c, v52
	v_sub_f16_e32 v67, v36, v56
	v_sub_f16_e32 v74, v64, v66
	v_fmamk_f16 v36, v61, 0xbb9c, v33
	v_fmac_f16_e32 v33, 0x3b9c, v61
	v_add_f16_e32 v64, v57, v64
	v_fmamk_f16 v57, v71, 0x3b9c, v54
	v_fmac_f16_e32 v54, 0xbb9c, v71
	v_fmac_f16_e32 v28, 0xbb9c, v59
	;; [unrolled: 1-line block ×5, first 2 shown]
	v_add_f16_e32 v63, v65, v67
	v_add_f16_e32 v60, v60, v74
	v_fmac_f16_e32 v36, 0x38b4, v59
	v_fmac_f16_e32 v33, 0xb8b4, v59
	;; [unrolled: 1-line block ×6, first 2 shown]
	v_add_f16_e32 v34, v34, v56
	v_add_f16_e32 v56, v64, v66
	v_fmac_f16_e32 v35, 0x34f2, v75
	v_fmac_f16_e32 v58, 0x34f2, v62
	;; [unrolled: 1-line block ×8, first 2 shown]
	v_pack_b32_f16 v59, v34, v56
	v_pack_b32_f16 v60, v35, v58
	;; [unrolled: 1-line block ×5, first 2 shown]
	ds_write2_b32 v38, v59, v60 offset1:208
	ds_write2_b32 v37, v61, v62 offset0:32 offset1:240
	ds_write_b32 v38, v63 offset:3328
	s_waitcnt lgkmcnt(0)
	s_barrier
	buffer_gl0_inv
	s_and_saveexec_b32 s4, vcc_lo
	s_cbranch_execz .LBB0_13
; %bb.12:
	s_add_u32 s2, s12, 0x1040
	s_addc_u32 s3, s13, 0
	v_add_co_u32 v59, s1, s2, v38
	global_load_dword v37, v38, s[2:3]
	v_add_co_ci_u32_e64 v60, null, s3, 0, s1
	v_add_co_u32 v59, s1, 0x800, v59
	s_clause 0x3
	global_load_dword v71, v38, s[2:3] offset:320
	global_load_dword v72, v38, s[2:3] offset:640
	;; [unrolled: 1-line block ×4, first 2 shown]
	v_add_co_ci_u32_e64 v60, s1, 0, v60, s1
	global_load_dword v75, v38, s[2:3] offset:1600
	v_or_b32_e32 v61, 0xa00, v38
	s_clause 0x6
	global_load_dword v76, v38, s[2:3] offset:1920
	global_load_dword v77, v[59:60], off offset:192
	global_load_dword v78, v61, s[2:3]
	global_load_dword v79, v[59:60], off offset:832
	global_load_dword v80, v[59:60], off offset:1152
	;; [unrolled: 1-line block ×4, first 2 shown]
	ds_read_b32 v59, v38
	v_add_nc_u32_e32 v83, 0x200, v38
	v_add_nc_u32_e32 v84, 0x800, v38
	;; [unrolled: 1-line block ×4, first 2 shown]
	s_waitcnt lgkmcnt(0)
	v_lshrrev_b32_e32 v60, 16, v59
	s_waitcnt vmcnt(12)
	v_mul_f16_sdwa v61, v60, v37 dst_sel:DWORD dst_unused:UNUSED_PAD src0_sel:DWORD src1_sel:WORD_1
	v_mul_f16_sdwa v62, v59, v37 dst_sel:DWORD dst_unused:UNUSED_PAD src0_sel:DWORD src1_sel:WORD_1
	v_fma_f16 v59, v59, v37, -v61
	v_fmac_f16_e32 v62, v60, v37
	v_pack_b32_f16 v37, v59, v62
	ds_write_b32 v38, v37
	v_add_nc_u32_e32 v37, 0x400, v38
	ds_read2_b32 v[59:60], v38 offset0:80 offset1:160
	ds_read2_b32 v[61:62], v83 offset0:112 offset1:192
	;; [unrolled: 1-line block ×6, first 2 shown]
	s_waitcnt lgkmcnt(5)
	v_lshrrev_b32_e32 v87, 16, v59
	s_waitcnt vmcnt(11)
	v_mul_f16_sdwa v88, v59, v71 dst_sel:DWORD dst_unused:UNUSED_PAD src0_sel:DWORD src1_sel:WORD_1
	v_lshrrev_b32_e32 v89, 16, v60
	s_waitcnt vmcnt(10)
	v_mul_f16_sdwa v90, v60, v72 dst_sel:DWORD dst_unused:UNUSED_PAD src0_sel:DWORD src1_sel:WORD_1
	s_waitcnt lgkmcnt(4)
	v_lshrrev_b32_e32 v91, 16, v61
	s_waitcnt vmcnt(9)
	v_mul_f16_sdwa v92, v61, v73 dst_sel:DWORD dst_unused:UNUSED_PAD src0_sel:DWORD src1_sel:WORD_1
	v_lshrrev_b32_e32 v93, 16, v62
	s_waitcnt vmcnt(8)
	v_mul_f16_sdwa v94, v62, v74 dst_sel:DWORD dst_unused:UNUSED_PAD src0_sel:DWORD src1_sel:WORD_1
	;; [unrolled: 7-line block ×3, first 2 shown]
	v_lshrrev_b32_e32 v99, 16, v65
	s_waitcnt vmcnt(5)
	v_mul_f16_sdwa v100, v65, v77 dst_sel:DWORD dst_unused:UNUSED_PAD src0_sel:DWORD src1_sel:WORD_1
	v_lshrrev_b32_e32 v101, 16, v66
	s_waitcnt vmcnt(4)
	v_mul_f16_sdwa v102, v66, v78 dst_sel:DWORD dst_unused:UNUSED_PAD src0_sel:DWORD src1_sel:WORD_1
	s_waitcnt lgkmcnt(1)
	v_lshrrev_b32_e32 v103, 16, v67
	s_waitcnt vmcnt(3)
	v_mul_f16_sdwa v104, v67, v79 dst_sel:DWORD dst_unused:UNUSED_PAD src0_sel:DWORD src1_sel:WORD_1
	v_lshrrev_b32_e32 v105, 16, v68
	s_waitcnt vmcnt(2)
	v_mul_f16_sdwa v106, v68, v80 dst_sel:DWORD dst_unused:UNUSED_PAD src0_sel:DWORD src1_sel:WORD_1
	s_waitcnt lgkmcnt(0)
	v_lshrrev_b32_e32 v107, 16, v69
	s_waitcnt vmcnt(1)
	v_mul_f16_sdwa v108, v69, v81 dst_sel:DWORD dst_unused:UNUSED_PAD src0_sel:DWORD src1_sel:WORD_1
	v_lshrrev_b32_e32 v109, 16, v70
	v_mul_f16_sdwa v111, v87, v71 dst_sel:DWORD dst_unused:UNUSED_PAD src0_sel:DWORD src1_sel:WORD_1
	v_fmac_f16_e32 v88, v87, v71
	v_mul_f16_sdwa v87, v89, v72 dst_sel:DWORD dst_unused:UNUSED_PAD src0_sel:DWORD src1_sel:WORD_1
	v_fmac_f16_e32 v90, v89, v72
	;; [unrolled: 2-line block ×9, first 2 shown]
	v_mul_f16_sdwa v103, v105, v80 dst_sel:DWORD dst_unused:UNUSED_PAD src0_sel:DWORD src1_sel:WORD_1
	s_waitcnt vmcnt(0)
	v_mul_f16_sdwa v110, v70, v82 dst_sel:DWORD dst_unused:UNUSED_PAD src0_sel:DWORD src1_sel:WORD_1
	v_fmac_f16_e32 v106, v105, v80
	v_mul_f16_sdwa v105, v107, v81 dst_sel:DWORD dst_unused:UNUSED_PAD src0_sel:DWORD src1_sel:WORD_1
	v_fmac_f16_e32 v108, v107, v81
	v_mul_f16_sdwa v107, v109, v82 dst_sel:DWORD dst_unused:UNUSED_PAD src0_sel:DWORD src1_sel:WORD_1
	v_fma_f16 v59, v59, v71, -v111
	v_fma_f16 v60, v60, v72, -v87
	;; [unrolled: 1-line block ×10, first 2 shown]
	v_fmac_f16_e32 v110, v109, v82
	v_fma_f16 v69, v69, v81, -v105
	v_fma_f16 v70, v70, v82, -v107
	v_pack_b32_f16 v59, v59, v88
	v_pack_b32_f16 v60, v60, v90
	;; [unrolled: 1-line block ×12, first 2 shown]
	ds_write2_b32 v38, v59, v60 offset0:80 offset1:160
	ds_write2_b32 v83, v61, v62 offset0:112 offset1:192
	;; [unrolled: 1-line block ×6, first 2 shown]
.LBB0_13:
	s_or_b32 exec_lo, exec_lo, s4
	s_waitcnt lgkmcnt(0)
	s_barrier
	buffer_gl0_inv
	s_and_saveexec_b32 s1, vcc_lo
	s_cbranch_execz .LBB0_15
; %bb.14:
	v_add_nc_u32_e32 v20, 0x400, v38
	v_add_nc_u32_e32 v24, 0x600, v38
	;; [unrolled: 1-line block ×3, first 2 shown]
	ds_read2_b32 v[34:35], v38 offset1:80
	ds_read2_b32 v[36:37], v38 offset0:160 offset1:240
	ds_read_b32 v30, v38 offset:3840
	ds_read2_b32 v[28:29], v20 offset0:64 offset1:144
	v_add_nc_u32_e32 v20, 0xc00, v38
	ds_read2_b32 v[24:25], v24 offset0:96 offset1:176
	ds_read2_b32 v[26:27], v26 offset0:128 offset1:208
	;; [unrolled: 1-line block ×3, first 2 shown]
	s_waitcnt lgkmcnt(6)
	v_lshrrev_b32_e32 v56, 16, v34
	v_lshrrev_b32_e32 v58, 16, v35
	s_waitcnt lgkmcnt(5)
	v_lshrrev_b32_e32 v57, 16, v36
	v_lshrrev_b32_e32 v54, 16, v37
	s_waitcnt lgkmcnt(4)
	v_lshrrev_b32_e32 v55, 16, v30
	s_waitcnt lgkmcnt(3)
	v_lshrrev_b32_e32 v52, 16, v28
	v_lshrrev_b32_e32 v49, 16, v29
	s_waitcnt lgkmcnt(2)
	v_lshrrev_b32_e32 v20, 16, v24
	;; [unrolled: 3-line block ×4, first 2 shown]
	v_lshrrev_b32_e32 v53, 16, v32
	v_mov_b32_e32 v33, v37
.LBB0_15:
	s_or_b32 exec_lo, exec_lo, s1
	v_add_f16_e32 v37, v35, v34
	v_add_f16_e32 v59, v58, v56
	v_sub_f16_e32 v61, v58, v55
	v_add_f16_e32 v60, v30, v35
	v_add_f16_e32 v58, v55, v58
	;; [unrolled: 1-line block ×4, first 2 shown]
	v_mul_f16_e32 v62, 0xb770, v61
	v_sub_f16_e32 v81, v57, v53
	v_sub_f16_e32 v35, v35, v30
	v_add_f16_e32 v37, v33, v37
	v_add_f16_e32 v59, v54, v59
	v_mul_f16_e32 v63, 0x3b15, v58
	v_mul_f16_e32 v64, 0xba95, v61
	;; [unrolled: 1-line block ×3, first 2 shown]
	v_add_f16_e32 v37, v28, v37
	v_add_f16_e32 v59, v52, v59
	v_mul_f16_e32 v66, 0xbbf1, v61
	v_mul_f16_e32 v67, 0x2fb7, v58
	;; [unrolled: 1-line block ×3, first 2 shown]
	v_add_f16_e32 v37, v29, v37
	v_add_f16_e32 v59, v49, v59
	v_fmamk_f16 v69, v60, 0x3b15, v62
	v_mul_f16_e32 v76, 0xb94e, v61
	v_mul_f16_e32 v77, 0xb9fd, v58
	v_add_f16_e32 v37, v24, v37
	v_add_f16_e32 v59, v20, v59
	v_mul_f16_e32 v61, 0xb3a8, v61
	v_add_f16_e32 v83, v32, v36
	v_mul_f16_e32 v84, 0xba95, v81
	v_add_f16_e32 v37, v25, v37
	v_add_f16_e32 v59, v47, v59
	v_fmamk_f16 v70, v35, 0x3770, v63
	v_fma_f16 v62, v60, 0x3b15, -v62
	v_fmac_f16_e32 v63, 0xb770, v35
	v_add_f16_e32 v37, v26, v37
	v_add_f16_e32 v59, v48, v59
	v_fmamk_f16 v71, v60, 0x388b, v64
	v_fmamk_f16 v72, v35, 0x3a95, v65
	v_fma_f16 v64, v60, 0x388b, -v64
	v_add_f16_e32 v37, v27, v37
	v_add_f16_e32 v59, v50, v59
	v_fmac_f16_e32 v65, 0xba95, v35
	v_fmamk_f16 v73, v60, 0x2fb7, v66
	v_fmamk_f16 v74, v35, 0x3bf1, v67
	v_add_f16_e32 v37, v31, v37
	v_add_f16_e32 v59, v51, v59
	v_fma_f16 v66, v60, 0x2fb7, -v66
	v_fmac_f16_e32 v67, 0xbbf1, v35
	v_add_f16_e32 v69, v34, v69
	v_add_f16_e32 v37, v32, v37
	;; [unrolled: 1-line block ×4, first 2 shown]
	v_fmamk_f16 v78, v60, 0xb9fd, v76
	v_fmamk_f16 v79, v35, 0x394e, v77
	v_add_f16_e32 v30, v30, v37
	v_add_f16_e32 v37, v55, v59
	v_mul_f16_e32 v59, 0xb5ac, v58
	v_mul_f16_e32 v58, 0xbbc4, v58
	v_fmamk_f16 v55, v60, 0xb5ac, v68
	v_fma_f16 v68, v60, 0xb5ac, -v68
	v_fma_f16 v76, v60, 0xb9fd, -v76
	v_fmamk_f16 v75, v35, 0x3b7b, v59
	v_fmac_f16_e32 v59, 0xbb7b, v35
	v_fmac_f16_e32 v77, 0xb94e, v35
	v_fmamk_f16 v80, v60, 0xbbc4, v61
	v_fmamk_f16 v82, v35, 0x33a8, v58
	v_fma_f16 v57, v60, 0xbbc4, -v61
	v_fmac_f16_e32 v58, 0xb3a8, v35
	v_sub_f16_e32 v32, v36, v32
	v_fmamk_f16 v35, v83, 0x388b, v84
	v_mul_f16_e32 v36, 0x388b, v53
	v_add_f16_e32 v70, v56, v70
	v_add_f16_e32 v62, v34, v62
	v_add_f16_e32 v63, v56, v63
	v_add_f16_e32 v71, v34, v71
	v_add_f16_e32 v72, v56, v72
	v_add_f16_e32 v64, v34, v64
	v_add_f16_e32 v65, v56, v65
	v_add_f16_e32 v73, v34, v73
	v_add_f16_e32 v74, v56, v74
	v_add_f16_e32 v66, v34, v66
	v_add_f16_e32 v67, v56, v67
	v_add_f16_e32 v55, v34, v55
	v_add_f16_e32 v75, v56, v75
	v_add_f16_e32 v68, v34, v68
	v_add_f16_e32 v59, v56, v59
	v_add_f16_e32 v78, v34, v78
	v_add_f16_e32 v79, v56, v79
	v_add_f16_e32 v76, v34, v76
	v_add_f16_e32 v77, v56, v77
	v_add_f16_e32 v80, v34, v80
	v_add_f16_e32 v60, v56, v82
	v_add_f16_e32 v34, v34, v57
	v_add_f16_e32 v56, v56, v58
	v_add_f16_e32 v35, v35, v69
	v_fmamk_f16 v57, v32, 0x3a95, v36
	v_mul_f16_e32 v58, 0xbb7b, v81
	v_fma_f16 v61, v83, 0x388b, -v84
	v_fmac_f16_e32 v36, 0xba95, v32
	v_mul_f16_e32 v69, 0xb5ac, v53
	v_add_f16_e32 v57, v57, v70
	v_fmamk_f16 v70, v83, 0xb5ac, v58
	v_add_f16_e32 v61, v61, v62
	v_add_f16_e32 v36, v36, v63
	v_fmamk_f16 v62, v32, 0x3b7b, v69
	v_mul_f16_e32 v63, 0xb3a8, v81
	v_add_f16_e32 v70, v70, v71
	v_fma_f16 v58, v83, 0xb5ac, -v58
	v_fmac_f16_e32 v69, 0xbb7b, v32
	v_add_f16_e32 v62, v62, v72
	v_fmamk_f16 v71, v83, 0xbbc4, v63
	v_mul_f16_e32 v72, 0xbbc4, v53
	v_add_f16_e32 v58, v58, v64
	v_add_f16_e32 v64, v69, v65
	v_mul_f16_e32 v65, 0x394e, v81
	v_add_f16_e32 v69, v71, v73
	v_fmamk_f16 v71, v32, 0x33a8, v72
	v_fma_f16 v63, v83, 0xbbc4, -v63
	v_fmac_f16_e32 v72, 0xb3a8, v32
	v_mul_f16_e32 v82, 0xb9fd, v53
	v_fmamk_f16 v73, v83, 0xb9fd, v65
	v_add_f16_e32 v71, v71, v74
	v_add_f16_e32 v63, v63, v66
	;; [unrolled: 1-line block ×3, first 2 shown]
	v_fmamk_f16 v67, v32, 0xb94e, v82
	v_mul_f16_e32 v72, 0x3bf1, v81
	v_add_f16_e32 v55, v73, v55
	v_fma_f16 v65, v83, 0xb9fd, -v65
	v_mul_f16_e32 v73, 0x2fb7, v53
	v_add_f16_e32 v67, v67, v75
	v_fmamk_f16 v74, v83, 0x2fb7, v72
	v_mul_f16_e32 v75, 0x3770, v81
	v_fma_f16 v72, v83, 0x2fb7, -v72
	v_add_f16_e32 v65, v65, v68
	v_fmamk_f16 v68, v32, 0xbbf1, v73
	v_add_f16_e32 v74, v74, v78
	v_fmac_f16_e32 v73, 0x3bf1, v32
	v_fmamk_f16 v78, v83, 0x3b15, v75
	v_add_f16_e32 v72, v72, v76
	v_sub_f16_e32 v76, v54, v51
	v_add_f16_e32 v68, v68, v79
	v_mul_f16_e32 v53, 0x3b15, v53
	v_add_f16_e32 v73, v73, v77
	v_add_f16_e32 v77, v78, v80
	;; [unrolled: 1-line block ×3, first 2 shown]
	v_mul_f16_e32 v80, 0xbbf1, v76
	v_add_f16_e32 v51, v51, v54
	v_fmac_f16_e32 v82, 0x394e, v32
	v_fmamk_f16 v78, v32, 0xb770, v53
	v_fma_f16 v54, v83, 0x3b15, -v75
	v_fmac_f16_e32 v53, 0x3770, v32
	v_sub_f16_e32 v31, v33, v31
	v_fmamk_f16 v32, v79, 0x2fb7, v80
	v_mul_f16_e32 v33, 0x2fb7, v51
	v_add_f16_e32 v34, v54, v34
	v_add_f16_e32 v53, v53, v56
	v_mul_f16_e32 v54, 0xb3a8, v76
	v_add_f16_e32 v32, v32, v35
	v_fmamk_f16 v35, v31, 0x3bf1, v33
	v_fma_f16 v56, v79, 0x2fb7, -v80
	v_fmac_f16_e32 v33, 0xbbf1, v31
	v_mul_f16_e32 v75, 0xbbc4, v51
	v_add_f16_e32 v60, v78, v60
	v_add_f16_e32 v35, v35, v57
	v_fmamk_f16 v57, v79, 0xbbc4, v54
	v_add_f16_e32 v56, v56, v61
	v_add_f16_e32 v33, v33, v36
	v_fmamk_f16 v36, v31, 0x33a8, v75
	v_mul_f16_e32 v61, 0x3b7b, v76
	v_add_f16_e32 v57, v57, v70
	v_mul_f16_e32 v70, 0xb5ac, v51
	v_mul_f16_e32 v78, 0x3b15, v51
	v_add_f16_e32 v36, v36, v62
	v_fmamk_f16 v62, v79, 0xb5ac, v61
	v_fma_f16 v61, v79, 0xb5ac, -v61
	v_fma_f16 v54, v79, 0xbbc4, -v54
	v_fmac_f16_e32 v75, 0xb3a8, v31
	v_add_f16_e32 v59, v82, v59
	v_add_f16_e32 v62, v62, v69
	v_fmamk_f16 v69, v31, 0xbb7b, v70
	v_fmac_f16_e32 v70, 0x3b7b, v31
	v_add_f16_e32 v61, v61, v63
	v_add_f16_e32 v54, v54, v58
	;; [unrolled: 1-line block ×3, first 2 shown]
	v_mul_f16_e32 v64, 0x3770, v76
	v_add_f16_e32 v63, v70, v66
	v_fmamk_f16 v66, v31, 0xb770, v78
	v_mul_f16_e32 v70, 0xba95, v76
	v_add_f16_e32 v69, v69, v71
	v_fmamk_f16 v75, v79, 0x3b15, v64
	v_fma_f16 v64, v79, 0x3b15, -v64
	v_add_f16_e32 v66, v66, v67
	v_fmamk_f16 v67, v79, 0x388b, v70
	v_fma_f16 v70, v79, 0x388b, -v70
	v_mul_f16_e32 v71, 0x388b, v51
	v_add_f16_e32 v55, v75, v55
	v_add_f16_e32 v64, v64, v65
	v_mul_f16_e32 v75, 0xb94e, v76
	v_add_f16_e32 v70, v70, v72
	v_sub_f16_e32 v72, v52, v50
	v_fmamk_f16 v65, v31, 0x3a95, v71
	v_add_f16_e32 v67, v67, v74
	v_fmac_f16_e32 v71, 0xba95, v31
	v_mul_f16_e32 v51, 0xb9fd, v51
	v_add_f16_e32 v74, v27, v28
	v_mul_f16_e32 v76, 0xbb7b, v72
	v_add_f16_e32 v50, v50, v52
	v_fmac_f16_e32 v78, 0x3770, v31
	v_add_f16_e32 v71, v71, v73
	v_fmamk_f16 v73, v31, 0x394e, v51
	v_fma_f16 v52, v79, 0xb9fd, -v75
	v_fmac_f16_e32 v51, 0xb94e, v31
	v_sub_f16_e32 v27, v28, v27
	v_fmamk_f16 v28, v74, 0xb5ac, v76
	v_mul_f16_e32 v31, 0xb5ac, v50
	v_add_f16_e32 v60, v73, v60
	v_add_f16_e32 v34, v52, v34
	;; [unrolled: 1-line block ×4, first 2 shown]
	v_fmamk_f16 v32, v27, 0x3b7b, v31
	v_mul_f16_e32 v52, 0x394e, v72
	v_fma_f16 v53, v74, 0xb5ac, -v76
	v_fmac_f16_e32 v31, 0xbb7b, v27
	v_mul_f16_e32 v73, 0xb9fd, v50
	v_add_f16_e32 v32, v32, v35
	v_fmamk_f16 v35, v74, 0xb9fd, v52
	v_add_f16_e32 v53, v53, v56
	v_add_f16_e32 v31, v31, v33
	v_fmamk_f16 v33, v27, 0xb94e, v73
	v_mul_f16_e32 v56, 0x3770, v72
	v_add_f16_e32 v35, v35, v57
	v_mul_f16_e32 v57, 0x3b15, v50
	v_add_f16_e32 v65, v65, v68
	v_add_f16_e32 v33, v33, v36
	v_fmamk_f16 v36, v74, 0x3b15, v56
	v_fmamk_f16 v68, v79, 0xb9fd, v75
	v_fma_f16 v52, v74, 0xb9fd, -v52
	v_fmac_f16_e32 v73, 0x394e, v27
	v_fma_f16 v56, v74, 0x3b15, -v56
	v_add_f16_e32 v36, v36, v62
	v_fmamk_f16 v62, v27, 0xb770, v57
	v_fmac_f16_e32 v57, 0x3770, v27
	v_mul_f16_e32 v75, 0x2fb7, v50
	v_add_f16_e32 v52, v52, v54
	v_add_f16_e32 v54, v73, v58
	v_mul_f16_e32 v58, 0xbbf1, v72
	v_add_f16_e32 v56, v56, v61
	v_add_f16_e32 v57, v57, v63
	v_fmamk_f16 v61, v27, 0x3bf1, v75
	v_mul_f16_e32 v63, 0x33a8, v72
	v_fmamk_f16 v73, v74, 0x2fb7, v58
	v_add_f16_e32 v62, v62, v69
	v_fma_f16 v58, v74, 0x2fb7, -v58
	v_mul_f16_e32 v69, 0xbbc4, v50
	v_add_f16_e32 v61, v61, v66
	v_fmamk_f16 v66, v74, 0xbbc4, v63
	v_mul_f16_e32 v72, 0x3a95, v72
	v_add_f16_e32 v58, v58, v64
	v_fmamk_f16 v64, v27, 0xb3a8, v69
	v_fma_f16 v63, v74, 0xbbc4, -v63
	v_add_f16_e32 v66, v66, v67
	v_fmac_f16_e32 v69, 0x33a8, v27
	v_sub_f16_e32 v67, v49, v48
	v_add_f16_e32 v68, v68, v77
	v_add_f16_e32 v64, v64, v65
	v_fmamk_f16 v65, v74, 0x388b, v72
	v_mul_f16_e32 v50, 0x388b, v50
	v_add_f16_e32 v63, v63, v70
	v_add_f16_e32 v69, v69, v71
	;; [unrolled: 1-line block ×3, first 2 shown]
	v_mul_f16_e32 v71, 0xb94e, v67
	v_add_f16_e32 v48, v48, v49
	v_fmac_f16_e32 v75, 0xbbf1, v27
	v_add_f16_e32 v65, v65, v68
	v_fmamk_f16 v68, v27, 0xba95, v50
	v_fma_f16 v49, v74, 0x388b, -v72
	v_fmac_f16_e32 v50, 0x3a95, v27
	v_sub_f16_e32 v26, v29, v26
	v_fmamk_f16 v27, v70, 0xb9fd, v71
	v_mul_f16_e32 v29, 0xb9fd, v48
	v_add_f16_e32 v34, v49, v34
	v_add_f16_e32 v49, v50, v51
	v_mul_f16_e32 v50, 0x3bf1, v67
	v_add_f16_e32 v27, v27, v28
	v_fmamk_f16 v28, v26, 0x394e, v29
	v_add_f16_e32 v60, v68, v60
	v_fma_f16 v51, v70, 0xb9fd, -v71
	v_fmac_f16_e32 v29, 0xb94e, v26
	v_mul_f16_e32 v68, 0x2fb7, v48
	v_add_f16_e32 v28, v28, v32
	v_fmamk_f16 v32, v70, 0x2fb7, v50
	v_add_f16_e32 v51, v51, v53
	v_add_f16_e32 v29, v29, v31
	v_fmamk_f16 v31, v26, 0xbbf1, v68
	v_mul_f16_e32 v53, 0xba95, v67
	v_add_f16_e32 v32, v32, v35
	v_fma_f16 v35, v70, 0x2fb7, -v50
	v_fmac_f16_e32 v68, 0x3bf1, v26
	v_add_f16_e32 v33, v31, v33
	v_fmamk_f16 v31, v70, 0x388b, v53
	v_mul_f16_e32 v50, 0x388b, v48
	v_add_f16_e32 v35, v35, v52
	v_add_f16_e32 v52, v68, v54
	v_mul_f16_e32 v54, 0x33a8, v67
	v_add_f16_e32 v55, v73, v55
	v_add_f16_e32 v68, v31, v36
	v_fmamk_f16 v31, v26, 0x3a95, v50
	v_fma_f16 v36, v70, 0x388b, -v53
	v_fmamk_f16 v53, v70, 0xbbc4, v54
	v_mul_f16_e32 v71, 0xbbc4, v48
	v_fmac_f16_e32 v50, 0xba95, v26
	v_add_f16_e32 v62, v31, v62
	v_add_f16_e32 v56, v36, v56
	;; [unrolled: 1-line block ×3, first 2 shown]
	v_fmamk_f16 v31, v26, 0xb3a8, v71
	v_mul_f16_e32 v36, 0x3770, v67
	v_fma_f16 v54, v70, 0xbbc4, -v54
	v_mul_f16_e32 v55, 0x3b15, v48
	v_add_f16_e32 v59, v78, v59
	v_add_f16_e32 v50, v50, v57
	;; [unrolled: 1-line block ×3, first 2 shown]
	v_fmamk_f16 v31, v70, 0x3b15, v36
	v_add_f16_e32 v54, v54, v58
	v_fmamk_f16 v58, v26, 0xb770, v55
	v_mul_f16_e32 v61, 0xbb7b, v67
	v_add_f16_e32 v59, v75, v59
	v_fmac_f16_e32 v71, 0x33a8, v26
	v_add_f16_e32 v66, v31, v66
	v_fma_f16 v31, v70, 0x3b15, -v36
	v_add_f16_e32 v58, v58, v64
	v_fmac_f16_e32 v55, 0x3770, v26
	v_fmamk_f16 v36, v70, 0xb5ac, v61
	v_sub_f16_e32 v64, v20, v47
	v_add_f16_e32 v59, v71, v59
	v_mul_f16_e32 v48, 0xb5ac, v48
	v_add_f16_e32 v67, v55, v69
	v_add_f16_e32 v65, v36, v65
	;; [unrolled: 1-line block ×3, first 2 shown]
	v_mul_f16_e32 v36, 0xb3a8, v64
	v_add_f16_e32 v71, v47, v20
	v_add_f16_e32 v63, v31, v63
	v_fmamk_f16 v31, v26, 0x3b7b, v48
	v_fma_f16 v20, v70, 0xb5ac, -v61
	v_sub_f16_e32 v61, v24, v25
	v_fmamk_f16 v24, v69, 0xbbc4, v36
	v_mul_f16_e32 v25, 0xbbc4, v71
	v_add_f16_e32 v60, v31, v60
	v_add_f16_e32 v70, v20, v34
	v_fmac_f16_e32 v48, 0xbb7b, v26
	v_add_f16_e32 v31, v24, v27
	v_fmamk_f16 v20, v61, 0x33a8, v25
	v_mul_f16_e32 v24, 0x3770, v64
	v_fmac_f16_e32 v25, 0xb3a8, v61
	v_mul_f16_e32 v27, 0x3b15, v71
	v_fma_f16 v26, v69, 0xbbc4, -v36
	v_add_f16_e32 v47, v20, v28
	v_fmamk_f16 v28, v69, 0x3b15, v24
	v_add_f16_e32 v36, v25, v29
	v_fmamk_f16 v25, v61, 0xb770, v27
	v_mul_f16_e32 v34, 0xb94e, v64
	v_add_f16_e32 v20, v26, v51
	v_add_f16_e32 v26, v28, v32
	v_fma_f16 v24, v69, 0x3b15, -v24
	v_fmac_f16_e32 v27, 0x3770, v61
	v_add_f16_e32 v55, v25, v33
	v_fmamk_f16 v25, v69, 0xb9fd, v34
	v_mul_f16_e32 v32, 0xb9fd, v71
	v_mul_f16_e32 v33, 0x3a95, v64
	v_add_f16_e32 v72, v48, v49
	v_add_f16_e32 v29, v24, v35
	;; [unrolled: 1-line block ×4, first 2 shown]
	v_fmamk_f16 v24, v61, 0x394e, v32
	v_fma_f16 v25, v69, 0xb9fd, -v34
	v_fmamk_f16 v34, v69, 0x388b, v33
	v_mul_f16_e32 v35, 0x388b, v71
	v_fmac_f16_e32 v32, 0xb94e, v61
	v_add_f16_e32 v51, v24, v62
	v_add_f16_e32 v28, v25, v56
	;; [unrolled: 1-line block ×3, first 2 shown]
	v_fmamk_f16 v25, v61, 0xba95, v35
	v_fma_f16 v33, v69, 0x388b, -v33
	v_fmac_f16_e32 v35, 0x3a95, v61
	v_mul_f16_e32 v34, 0xb5ac, v71
	v_add_f16_e32 v56, v32, v50
	v_mul_f16_e32 v32, 0xbb7b, v64
	v_add_f16_e32 v33, v33, v54
	v_add_f16_e32 v52, v35, v59
	v_fmamk_f16 v35, v61, 0x3b7b, v34
	v_mul_f16_e32 v50, 0x3bf1, v64
	v_mul_f16_e32 v54, 0x2fb7, v71
	v_add_f16_e32 v48, v25, v57
	v_fmamk_f16 v25, v69, 0xb5ac, v32
	v_fma_f16 v32, v69, 0xb5ac, -v32
	v_add_f16_e32 v53, v35, v58
	v_fmac_f16_e32 v34, 0xbb7b, v61
	v_fmamk_f16 v35, v69, 0x2fb7, v50
	v_fmamk_f16 v57, v61, 0xbbf1, v54
	v_fma_f16 v58, v69, 0x2fb7, -v50
	v_fmac_f16_e32 v54, 0x3bf1, v61
	v_add_f16_e32 v25, v25, v66
	v_add_f16_e32 v32, v32, v63
	;; [unrolled: 1-line block ×7, first 2 shown]
	s_barrier
	buffer_gl0_inv
	s_and_saveexec_b32 s1, vcc_lo
	s_cbranch_execz .LBB0_17
; %bb.16:
	v_mov_b32_e32 v58, 2
	v_perm_b32 v59, v47, v31, 0x5040100
	v_perm_b32 v60, v37, v30, 0x5040100
	;; [unrolled: 1-line block ×4, first 2 shown]
	v_lshlrev_b32_sdwa v43, v58, v43 dst_sel:DWORD dst_unused:UNUSED_PAD src0_sel:DWORD src1_sel:WORD_0
	v_perm_b32 v58, v55, v26, 0x5040100
	v_perm_b32 v63, v48, v24, 0x5040100
	;; [unrolled: 1-line block ×4, first 2 shown]
	ds_write2_b32 v43, v60, v59 offset1:1
	ds_write2_b32 v43, v58, v61 offset0:2 offset1:3
	v_perm_b32 v58, v57, v34, 0x5040100
	v_perm_b32 v59, v52, v33, 0x5040100
	;; [unrolled: 1-line block ×5, first 2 shown]
	ds_write2_b32 v43, v63, v62 offset0:4 offset1:5
	ds_write2_b32 v43, v58, v64 offset0:6 offset1:7
	;; [unrolled: 1-line block ×4, first 2 shown]
	ds_write_b32 v43, v66 offset:48
.LBB0_17:
	s_or_b32 exec_lo, exec_lo, s1
	s_waitcnt lgkmcnt(0)
	s_barrier
	buffer_gl0_inv
	s_and_saveexec_b32 s1, s0
	s_cbranch_execz .LBB0_19
; %bb.18:
	v_add_nc_u32_e32 v20, 0x400, v38
	v_add_nc_u32_e32 v21, 0x800, v38
	;; [unrolled: 1-line block ×3, first 2 shown]
	ds_read2_b32 v[30:31], v38 offset1:65
	ds_read2_b32 v[26:27], v38 offset0:130 offset1:195
	ds_read2_b32 v[24:25], v20 offset0:4 offset1:69
	;; [unrolled: 1-line block ×7, first 2 shown]
	s_waitcnt lgkmcnt(7)
	v_lshrrev_b32_e32 v37, 16, v30
	v_lshrrev_b32_e32 v47, 16, v31
	s_waitcnt lgkmcnt(6)
	v_lshrrev_b32_e32 v55, 16, v26
	v_lshrrev_b32_e32 v51, 16, v27
	s_waitcnt lgkmcnt(5)
	v_lshrrev_b32_e32 v48, 16, v24
	v_lshrrev_b32_e32 v53, 16, v25
	s_waitcnt lgkmcnt(4)
	v_lshrrev_b32_e32 v57, 16, v34
	v_lshrrev_b32_e32 v54, 16, v35
	s_waitcnt lgkmcnt(3)
	v_lshrrev_b32_e32 v50, 16, v32
	v_lshrrev_b32_e32 v52, 16, v33
	s_waitcnt lgkmcnt(2)
	v_lshrrev_b32_e32 v56, 16, v28
	v_lshrrev_b32_e32 v49, 16, v29
	s_waitcnt lgkmcnt(1)
	v_lshrrev_b32_e32 v36, 16, v20
	v_lshrrev_b32_e32 v44, 16, v21
	s_waitcnt lgkmcnt(0)
	v_lshrrev_b32_e32 v46, 16, v22
	v_lshrrev_b32_e32 v45, 16, v23
.LBB0_19:
	s_or_b32 exec_lo, exec_lo, s1
	s_barrier
	buffer_gl0_inv
	s_and_saveexec_b32 s1, s0
	s_cbranch_execz .LBB0_21
; %bb.20:
	v_mul_f16_sdwa v58, v9, v28 dst_sel:DWORD dst_unused:UNUSED_PAD src0_sel:WORD_1 src1_sel:DWORD
	v_mul_f16_sdwa v59, v5, v57 dst_sel:DWORD dst_unused:UNUSED_PAD src0_sel:WORD_1 src1_sel:DWORD
	v_mul_f16_sdwa v60, v17, v46 dst_sel:DWORD dst_unused:UNUSED_PAD src0_sel:WORD_1 src1_sel:DWORD
	v_mul_f16_sdwa v61, v5, v34 dst_sel:DWORD dst_unused:UNUSED_PAD src0_sel:WORD_1 src1_sel:DWORD
	v_mul_f16_sdwa v62, v17, v22 dst_sel:DWORD dst_unused:UNUSED_PAD src0_sel:WORD_1 src1_sel:DWORD
	v_fma_f16 v58, v9, v56, -v58
	v_fmac_f16_e32 v59, v5, v34
	v_fmac_f16_e32 v60, v17, v22
	v_mul_f16_sdwa v22, v1, v55 dst_sel:DWORD dst_unused:UNUSED_PAD src0_sel:WORD_1 src1_sel:DWORD
	v_mul_f16_sdwa v34, v9, v56 dst_sel:DWORD dst_unused:UNUSED_PAD src0_sel:WORD_1 src1_sel:DWORD
	;; [unrolled: 1-line block ×4, first 2 shown]
	v_fma_f16 v17, v17, v46, -v62
	v_fmac_f16_e32 v22, v1, v26
	v_fmac_f16_e32 v34, v9, v28
	;; [unrolled: 1-line block ×3, first 2 shown]
	v_mul_f16_sdwa v62, v6, v54 dst_sel:DWORD dst_unused:UNUSED_PAD src0_sel:WORD_1 src1_sel:DWORD
	v_mul_f16_sdwa v63, v18, v45 dst_sel:DWORD dst_unused:UNUSED_PAD src0_sel:WORD_1 src1_sel:DWORD
	;; [unrolled: 1-line block ×3, first 2 shown]
	v_sub_f16_e32 v26, v22, v34
	v_sub_f16_e32 v34, v30, v56
	v_mul_f16_sdwa v56, v2, v27 dst_sel:DWORD dst_unused:UNUSED_PAD src0_sel:WORD_1 src1_sel:DWORD
	v_fmac_f16_e32 v62, v6, v35
	v_fmac_f16_e32 v63, v18, v23
	v_mul_f16_sdwa v35, v6, v35 dst_sel:DWORD dst_unused:UNUSED_PAD src0_sel:WORD_1 src1_sel:DWORD
	v_mul_f16_sdwa v23, v18, v23 dst_sel:DWORD dst_unused:UNUSED_PAD src0_sel:WORD_1 src1_sel:DWORD
	v_fma_f16 v56, v2, v51, -v56
	v_mul_f16_sdwa v51, v2, v51 dst_sel:DWORD dst_unused:UNUSED_PAD src0_sel:WORD_1 src1_sel:DWORD
	v_fma_f16 v5, v5, v57, -v61
	v_mul_f16_sdwa v57, v10, v29 dst_sel:DWORD dst_unused:UNUSED_PAD src0_sel:WORD_1 src1_sel:DWORD
	v_fmac_f16_e32 v66, v4, v25
	v_fma_f16 v6, v6, v54, -v35
	v_fma_f16 v18, v18, v45, -v23
	v_fmac_f16_e32 v51, v2, v27
	v_mul_f16_sdwa v2, v10, v49 dst_sel:DWORD dst_unused:UNUSED_PAD src0_sel:WORD_1 src1_sel:DWORD
	v_mul_f16_sdwa v23, v4, v25 dst_sel:DWORD dst_unused:UNUSED_PAD src0_sel:WORD_1 src1_sel:DWORD
	;; [unrolled: 1-line block ×5, first 2 shown]
	v_fma_f16 v43, v1, v55, -v43
	v_mul_f16_sdwa v55, v11, v20 dst_sel:DWORD dst_unused:UNUSED_PAD src0_sel:WORD_1 src1_sel:DWORD
	v_fma_f16 v57, v10, v49, -v57
	v_mul_f16_sdwa v64, v0, v31 dst_sel:DWORD dst_unused:UNUSED_PAD src0_sel:WORD_1 src1_sel:DWORD
	v_mul_f16_sdwa v65, v8, v33 dst_sel:DWORD dst_unused:UNUSED_PAD src0_sel:WORD_1 src1_sel:DWORD
	;; [unrolled: 1-line block ×3, first 2 shown]
	v_fmac_f16_e32 v2, v10, v29
	v_fma_f16 v4, v4, v53, -v23
	v_fma_f16 v10, v16, v44, -v25
	v_fmac_f16_e32 v27, v0, v31
	v_fmac_f16_e32 v35, v8, v33
	v_mul_f16_sdwa v46, v3, v24 dst_sel:DWORD dst_unused:UNUSED_PAD src0_sel:WORD_1 src1_sel:DWORD
	v_fma_f16 v9, v11, v36, -v55
	v_fma_f16 v64, v0, v47, -v64
	;; [unrolled: 1-line block ×3, first 2 shown]
	v_fmac_f16_e32 v67, v16, v21
	v_sub_f16_e32 v8, v4, v10
	v_sub_f16_e32 v10, v27, v35
	v_mul_f16_sdwa v35, v3, v48 dst_sel:DWORD dst_unused:UNUSED_PAD src0_sel:WORD_1 src1_sel:DWORD
	v_mul_f16_sdwa v36, v11, v36 dst_sel:DWORD dst_unused:UNUSED_PAD src0_sel:WORD_1 src1_sel:DWORD
	;; [unrolled: 1-line block ×3, first 2 shown]
	v_fma_f16 v1, v3, v48, -v46
	v_sub_f16_e32 v57, v56, v57
	v_sub_f16_e32 v0, v6, v18
	;; [unrolled: 1-line block ×5, first 2 shown]
	v_fmac_f16_e32 v35, v3, v24
	v_fmac_f16_e32 v36, v11, v20
	v_fma_f16 v3, v7, v50, -v32
	v_sub_f16_e32 v28, v43, v58
	v_sub_f16_e32 v46, v59, v60
	;; [unrolled: 1-line block ×10, first 2 shown]
	v_add_f16_e32 v23, v0, v2
	v_add_f16_e32 v25, v8, v10
	v_fmamk_f16 v44, v29, 0x39a8, v31
	v_fma_f16 v24, v35, 2.0, -v11
	v_sub_f16_e32 v11, v3, v11
	v_add_f16_e32 v55, v17, v26
	v_add_f16_e32 v58, v9, v34
	v_fmamk_f16 v33, v23, 0x39a8, v25
	v_fmac_f16_e32 v44, 0xb9a8, v23
	v_fma_f16 v20, v43, 2.0, -v28
	v_fma_f16 v5, v5, 2.0, -v17
	;; [unrolled: 1-line block ×18, first 2 shown]
	v_sub_f16_e32 v5, v20, v5
	v_sub_f16_e32 v24, v17, v24
	;; [unrolled: 1-line block ×7, first 2 shown]
	v_fma_f16 v34, v34, 2.0, -v58
	v_fma_f16 v26, v26, 2.0, -v55
	v_fmamk_f16 v49, v28, 0xb9a8, v3
	v_sub_f16_e32 v23, v22, v23
	v_fmac_f16_e32 v33, 0x39a8, v29
	v_add_f16_e32 v35, v5, v24
	v_add_f16_e32 v36, v0, v21
	v_sub_f16_e32 v43, v4, v16
	v_fma_f16 v18, v18, 2.0, -v31
	v_fma_f16 v29, v57, 2.0, -v29
	;; [unrolled: 1-line block ×3, first 2 shown]
	v_fmamk_f16 v46, v26, 0xb9a8, v34
	v_fmac_f16_e32 v49, 0xb9a8, v26
	v_sub_f16_e32 v26, v1, v23
	v_fmamk_f16 v61, v55, 0x39a8, v58
	v_fmamk_f16 v27, v60, 0x39a8, v11
	;; [unrolled: 1-line block ×6, first 2 shown]
	v_fma_f16 v17, v17, 2.0, -v24
	v_fma_f16 v22, v22, 2.0, -v23
	;; [unrolled: 1-line block ×10, first 2 shown]
	v_fmac_f16_e32 v61, 0x39a8, v60
	v_fmac_f16_e32 v27, 0xb9a8, v55
	;; [unrolled: 1-line block ×7, first 2 shown]
	v_sub_f16_e32 v22, v17, v22
	v_sub_f16_e32 v0, v23, v0
	;; [unrolled: 1-line block ×4, first 2 shown]
	v_fma_f16 v4, v4, 2.0, -v43
	v_fmamk_f16 v36, v21, 0xb9a8, v24
	v_fma_f16 v1, v1, 2.0, -v26
	v_fmamk_f16 v2, v44, 0x3b64, v27
	v_fma_f16 v16, v58, 2.0, -v61
	v_fma_f16 v20, v25, 2.0, -v33
	v_fmamk_f16 v7, v33, 0x3b64, v61
	v_fma_f16 v50, v35, 2.0, -v45
	v_add_f16_e32 v25, v22, v0
	v_sub_f16_e32 v35, v5, v8
	v_fmac_f16_e32 v36, 0x39a8, v4
	v_fmamk_f16 v4, v4, 0xb9a8, v1
	v_fma_f16 v34, v34, 2.0, -v46
	v_fma_f16 v10, v10, 2.0, -v48
	;; [unrolled: 1-line block ×4, first 2 shown]
	v_fmac_f16_e32 v2, 0xb61f, v33
	v_fma_f16 v31, v31, 2.0, -v44
	v_fmamk_f16 v33, v20, 0xb61f, v16
	v_fma_f16 v11, v11, 2.0, -v27
	v_fmac_f16_e32 v7, 0x361f, v44
	v_fma_f16 v44, v22, 2.0, -v25
	v_fma_f16 v43, v5, 2.0, -v35
	v_fmac_f16_e32 v4, 0xb9a8, v21
	v_fmamk_f16 v21, v10, 0xbb64, v34
	v_fma_f16 v17, v17, 2.0, -v22
	v_fma_f16 v6, v6, 2.0, -v8
	;; [unrolled: 1-line block ×3, first 2 shown]
	v_mov_b32_e32 v8, 0xd0
	v_fma_f16 v0, v23, 2.0, -v0
	v_fmamk_f16 v22, v18, 0xbb64, v3
	v_fmac_f16_e32 v33, 0x3b64, v31
	v_fmamk_f16 v31, v31, 0xb61f, v11
	v_fmamk_f16 v28, v48, 0x361f, v46
	;; [unrolled: 1-line block ×3, first 2 shown]
	v_fmac_f16_e32 v21, 0x361f, v18
	v_sub_f16_e32 v6, v17, v6
	v_mul_u32_u24_sdwa v8, v42, v8 dst_sel:DWORD dst_unused:UNUSED_PAD src0_sel:WORD_0 src1_sel:DWORD
	v_sub_f16_e32 v0, v5, v0
	v_fmac_f16_e32 v22, 0xb61f, v10
	v_fmac_f16_e32 v31, 0xbb64, v20
	;; [unrolled: 1-line block ×4, first 2 shown]
	v_fma_f16 v10, v34, 2.0, -v21
	v_fma_f16 v17, v17, 2.0, -v6
	v_or_b32_e32 v8, v8, v41
	v_fma_f16 v5, v5, 2.0, -v0
	v_fma_f16 v3, v3, 2.0, -v22
	;; [unrolled: 1-line block ×9, first 2 shown]
	v_lshlrev_b32_e32 v8, 2, v8
	v_pack_b32_f16 v5, v17, v5
	v_pack_b32_f16 v3, v10, v3
	v_fma_f16 v17, v26, 2.0, -v51
	v_fma_f16 v18, v27, 2.0, -v2
	v_pack_b32_f16 v1, v20, v1
	v_pack_b32_f16 v10, v16, v11
	;; [unrolled: 1-line block ×4, first 2 shown]
	ds_write2_b32 v8, v5, v3 offset1:13
	ds_write2_b32 v8, v1, v10 offset0:26 offset1:39
	ds_write2_b32 v8, v11, v16 offset0:52 offset1:65
	v_pack_b32_f16 v1, v50, v17
	v_pack_b32_f16 v3, v9, v18
	;; [unrolled: 1-line block ×10, first 2 shown]
	ds_write2_b32 v8, v1, v3 offset0:78 offset1:91
	ds_write2_b32 v8, v0, v5 offset0:104 offset1:117
	;; [unrolled: 1-line block ×5, first 2 shown]
.LBB0_21:
	s_or_b32 exec_lo, exec_lo, s1
	s_waitcnt lgkmcnt(0)
	s_barrier
	buffer_gl0_inv
	ds_read2_b32 v[0:1], v38 offset1:208
	v_add_nc_u32_e32 v4, 0x600, v38
	ds_read_b32 v5, v38 offset:3328
	ds_read2_b32 v[2:3], v4 offset0:32 offset1:240
	s_waitcnt lgkmcnt(2)
	v_lshrrev_b32_e32 v7, 16, v1
	v_mul_f16_sdwa v9, v12, v1 dst_sel:DWORD dst_unused:UNUSED_PAD src0_sel:WORD_1 src1_sel:DWORD
	v_lshrrev_b32_e32 v6, 16, v0
	s_waitcnt lgkmcnt(1)
	v_lshrrev_b32_e32 v8, 16, v5
	v_mul_f16_sdwa v10, v15, v5 dst_sel:DWORD dst_unused:UNUSED_PAD src0_sel:WORD_1 src1_sel:DWORD
	s_waitcnt lgkmcnt(0)
	v_lshrrev_b32_e32 v11, 16, v2
	v_lshrrev_b32_e32 v16, 16, v3
	v_mul_f16_sdwa v17, v12, v7 dst_sel:DWORD dst_unused:UNUSED_PAD src0_sel:WORD_1 src1_sel:DWORD
	v_mul_f16_sdwa v20, v15, v8 dst_sel:DWORD dst_unused:UNUSED_PAD src0_sel:WORD_1 src1_sel:DWORD
	v_fma_f16 v8, v15, v8, -v10
	v_fma_f16 v7, v12, v7, -v9
	v_mul_f16_sdwa v10, v14, v16 dst_sel:DWORD dst_unused:UNUSED_PAD src0_sel:WORD_1 src1_sel:DWORD
	v_fmac_f16_e32 v17, v12, v1
	v_mul_f16_sdwa v1, v13, v11 dst_sel:DWORD dst_unused:UNUSED_PAD src0_sel:WORD_1 src1_sel:DWORD
	v_mul_f16_sdwa v9, v13, v2 dst_sel:DWORD dst_unused:UNUSED_PAD src0_sel:WORD_1 src1_sel:DWORD
	;; [unrolled: 1-line block ×3, first 2 shown]
	v_fmac_f16_e32 v20, v15, v5
	v_fmac_f16_e32 v10, v14, v3
	v_fmac_f16_e32 v1, v13, v2
	v_fma_f16 v9, v13, v11, -v9
	v_fma_f16 v11, v14, v16, -v18
	v_add_f16_e32 v13, v17, v20
	v_add_f16_e32 v2, v0, v17
	v_add_f16_e32 v18, v1, v10
	v_sub_f16_e32 v16, v17, v20
	v_sub_f16_e32 v3, v9, v11
	v_add_f16_e32 v14, v9, v11
	v_sub_f16_e32 v21, v17, v1
	v_sub_f16_e32 v17, v1, v17
	;; [unrolled: 1-line block ×3, first 2 shown]
	v_fma_f16 v18, -0.5, v18, v0
	v_fmac_f16_e32 v0, -0.5, v13
	v_sub_f16_e32 v5, v7, v8
	v_add_f16_e32 v12, v6, v7
	v_add_f16_e32 v15, v7, v8
	;; [unrolled: 1-line block ×3, first 2 shown]
	v_sub_f16_e32 v22, v20, v10
	v_fma_f16 v14, -0.5, v14, v6
	v_add_f16_e32 v13, v17, v23
	v_fmamk_f16 v23, v3, 0x3b9c, v0
	v_fmac_f16_e32 v0, 0xbb9c, v3
	v_add_f16_e32 v12, v12, v9
	v_fmamk_f16 v17, v5, 0xbb9c, v18
	v_fmac_f16_e32 v18, 0x3b9c, v5
	v_sub_f16_e32 v1, v1, v10
	v_fmac_f16_e32 v6, -0.5, v15
	v_add_f16_e32 v2, v2, v10
	v_add_f16_e32 v21, v21, v22
	v_fmamk_f16 v22, v16, 0x3b9c, v14
	v_fmac_f16_e32 v23, 0xb8b4, v5
	v_fmac_f16_e32 v0, 0x38b4, v5
	v_sub_f16_e32 v5, v7, v9
	v_sub_f16_e32 v10, v8, v11
	v_fmac_f16_e32 v17, 0xb8b4, v3
	v_fmac_f16_e32 v18, 0x38b4, v3
	v_add_f16_e32 v3, v12, v11
	v_fmamk_f16 v12, v1, 0xbb9c, v6
	v_sub_f16_e32 v7, v9, v7
	v_sub_f16_e32 v9, v11, v8
	v_fmac_f16_e32 v6, 0x3b9c, v1
	v_fmac_f16_e32 v14, 0xbb9c, v16
	;; [unrolled: 1-line block ×3, first 2 shown]
	v_add_f16_e32 v5, v5, v10
	v_fmac_f16_e32 v12, 0x38b4, v16
	v_add_f16_e32 v7, v7, v9
	v_fmac_f16_e32 v6, 0xb8b4, v16
	v_fmac_f16_e32 v14, 0xb8b4, v1
	v_add_f16_e32 v2, v2, v20
	v_fmac_f16_e32 v17, 0x34f2, v21
	v_add_f16_e32 v1, v3, v8
	v_fmac_f16_e32 v22, 0x34f2, v5
	v_fmac_f16_e32 v23, 0x34f2, v13
	;; [unrolled: 1-line block ×7, first 2 shown]
	v_pack_b32_f16 v1, v2, v1
	v_pack_b32_f16 v2, v17, v22
	;; [unrolled: 1-line block ×5, first 2 shown]
	ds_write2_b32 v38, v1, v2 offset1:208
	ds_write2_b32 v4, v3, v0 offset0:32 offset1:240
	ds_write_b32 v38, v5 offset:3328
	s_waitcnt lgkmcnt(0)
	s_barrier
	buffer_gl0_inv
	s_and_b32 exec_lo, exec_lo, vcc_lo
	s_cbranch_execz .LBB0_23
; %bb.22:
	s_clause 0x5
	global_load_dword v9, v38, s[12:13]
	global_load_dword v11, v38, s[12:13] offset:320
	global_load_dword v12, v38, s[12:13] offset:640
	;; [unrolled: 1-line block ×5, first 2 shown]
	ds_read_b32 v24, v38
	global_load_dword v10, v38, s[12:13] offset:1920
	ds_read2_b32 v[17:18], v38 offset0:80 offset1:160
	v_mad_u64_u32 v[4:5], null, s22, v19, 0
	v_add_nc_u32_e32 v2, 0x200, v38
	v_mad_u64_u32 v[15:16], null, s20, v40, 0
	v_add_co_u32 v1, s0, s12, v38
	ds_read2_b32 v[20:21], v2 offset0:112 offset1:192
	v_mov_b32_e32 v0, v5
	v_add_co_ci_u32_e64 v3, null, s13, 0, s0
	v_add_nc_u32_e32 v7, 0x400, v38
	v_mov_b32_e32 v2, v16
	v_mad_u64_u32 v[5:6], null, s23, v19, v[0:1]
	v_add_co_u32 v0, vcc_lo, 0x800, v1
	s_waitcnt lgkmcnt(2)
	v_lshrrev_b32_e32 v19, 16, v24
	v_add_co_ci_u32_e32 v1, vcc_lo, 0, v3, vcc_lo
	v_mad_u64_u32 v[22:23], null, s21, v40, v[2:3]
	ds_read2_b32 v[2:3], v7 offset0:144 offset1:224
	s_waitcnt lgkmcnt(2)
	v_lshrrev_b32_e32 v25, 16, v17
	v_lshrrev_b32_e32 v26, 16, v18
	s_mov_b32 s18, 0x1f81f820
	s_mov_b32 s19, 0x3f4f81f8
	s_waitcnt lgkmcnt(1)
	v_lshrrev_b32_e32 v27, 16, v20
	v_lshrrev_b32_e32 v28, 16, v21
	v_mov_b32_e32 v16, v22
	v_lshlrev_b64 v[4:5], 2, v[4:5]
	s_mul_i32 s0, s21, 0x140
	s_mul_hi_u32 s22, s20, 0x140
	s_mul_i32 s17, s20, 0x140
	v_lshlrev_b64 v[15:16], 2, v[15:16]
	s_add_i32 s22, s22, s0
	v_add_co_u32 v4, vcc_lo, s6, v4
	v_add_co_ci_u32_e32 v5, vcc_lo, s7, v5, vcc_lo
	v_lshlrev_b32_e32 v8, 2, v39
	v_add_co_u32 v15, vcc_lo, v4, v15
	s_waitcnt lgkmcnt(0)
	v_lshrrev_b32_e32 v40, 16, v2
	v_add_co_ci_u32_e32 v16, vcc_lo, v5, v16, vcc_lo
	v_add_co_u32 v22, vcc_lo, v15, s17
	s_clause 0x2
	global_load_dword v6, v8, s[12:13]
	global_load_dword v8, v[0:1], off offset:192
	global_load_dword v7, v[0:1], off offset:832
	v_add_co_ci_u32_e32 v23, vcc_lo, s22, v16, vcc_lo
	s_waitcnt vmcnt(9)
	v_mul_f16_sdwa v29, v19, v9 dst_sel:DWORD dst_unused:UNUSED_PAD src0_sel:DWORD src1_sel:WORD_1
	v_mul_f16_sdwa v30, v24, v9 dst_sel:DWORD dst_unused:UNUSED_PAD src0_sel:DWORD src1_sel:WORD_1
	s_waitcnt vmcnt(8)
	v_mul_f16_sdwa v31, v25, v11 dst_sel:DWORD dst_unused:UNUSED_PAD src0_sel:DWORD src1_sel:WORD_1
	v_mul_f16_sdwa v32, v17, v11 dst_sel:DWORD dst_unused:UNUSED_PAD src0_sel:DWORD src1_sel:WORD_1
	s_waitcnt vmcnt(7)
	v_mul_f16_sdwa v33, v26, v12 dst_sel:DWORD dst_unused:UNUSED_PAD src0_sel:DWORD src1_sel:WORD_1
	v_fmac_f16_e32 v29, v24, v9
	v_mul_f16_sdwa v34, v18, v12 dst_sel:DWORD dst_unused:UNUSED_PAD src0_sel:DWORD src1_sel:WORD_1
	v_fma_f16 v9, v9, v19, -v30
	v_fmac_f16_e32 v31, v17, v11
	v_fma_f16 v17, v11, v25, -v32
	v_cvt_f32_f16_e32 v11, v29
	s_waitcnt vmcnt(6)
	v_mul_f16_sdwa v35, v27, v13 dst_sel:DWORD dst_unused:UNUSED_PAD src0_sel:DWORD src1_sel:WORD_1
	v_mul_f16_sdwa v36, v20, v13 dst_sel:DWORD dst_unused:UNUSED_PAD src0_sel:DWORD src1_sel:WORD_1
	s_waitcnt vmcnt(5)
	v_mul_f16_sdwa v37, v28, v14 dst_sel:DWORD dst_unused:UNUSED_PAD src0_sel:DWORD src1_sel:WORD_1
	v_mul_f16_sdwa v42, v21, v14 dst_sel:DWORD dst_unused:UNUSED_PAD src0_sel:DWORD src1_sel:WORD_1
	v_fmac_f16_e32 v33, v18, v12
	v_fma_f16 v18, v12, v26, -v34
	v_cvt_f32_f16_e32 v9, v9
	v_cvt_f64_f32_e32 v[11:12], v11
	v_fmac_f16_e32 v35, v20, v13
	v_fma_f16 v24, v13, v27, -v36
	v_fmac_f16_e32 v37, v21, v14
	v_fma_f16 v21, v14, v28, -v42
	v_cvt_f64_f32_e32 v[13:14], v9
	v_cvt_f32_f16_e32 v9, v31
	s_waitcnt vmcnt(4)
	v_mul_f16_sdwa v43, v40, v41 dst_sel:DWORD dst_unused:UNUSED_PAD src0_sel:DWORD src1_sel:WORD_1
	v_cvt_f32_f16_e32 v19, v17
	v_cvt_f32_f16_e32 v26, v18
	v_mul_f16_sdwa v44, v2, v41 dst_sel:DWORD dst_unused:UNUSED_PAD src0_sel:DWORD src1_sel:WORD_1
	v_cvt_f64_f32_e32 v[17:18], v9
	v_fmac_f16_e32 v43, v2, v41
	v_cvt_f32_f16_e32 v2, v33
	v_cvt_f64_f32_e32 v[19:20], v19
	v_cvt_f32_f16_e32 v30, v24
	v_cvt_f32_f16_e32 v9, v35
	v_cvt_f64_f32_e32 v[26:27], v26
	v_cvt_f64_f32_e32 v[24:25], v2
	v_fma_f16 v2, v41, v40, -v44
	v_cvt_f32_f16_e32 v32, v37
	v_cvt_f64_f32_e32 v[28:29], v9
	v_mul_f64 v[11:12], v[11:12], s[18:19]
	v_cvt_f64_f32_e32 v[30:31], v30
	v_cvt_f32_f16_e32 v2, v2
	v_cvt_f32_f16_e32 v21, v21
	v_cvt_f64_f32_e32 v[32:33], v32
	v_mul_f64 v[13:14], v[13:14], s[18:19]
	v_add_co_u32 v40, vcc_lo, v22, s17
	v_add_co_ci_u32_e32 v41, vcc_lo, s22, v23, vcc_lo
	v_cvt_f64_f32_e32 v[44:45], v2
	v_mul_f64 v[17:18], v[17:18], s[18:19]
	v_cvt_f32_f16_e32 v36, v43
	v_cvt_f64_f32_e32 v[34:35], v21
	v_mul_f64 v[19:20], v[19:20], s[18:19]
	v_add_co_u32 v42, vcc_lo, v40, s17
	v_mul_f64 v[26:27], v[26:27], s[18:19]
	v_mul_f64 v[24:25], v[24:25], s[18:19]
	v_add_co_ci_u32_e32 v43, vcc_lo, s22, v41, vcc_lo
	v_cvt_f64_f32_e32 v[36:37], v36
	v_and_or_b32 v2, 0x1ff, v12, v11
	v_mul_f64 v[28:29], v[28:29], s[18:19]
	v_mul_f64 v[30:31], v[30:31], s[18:19]
	v_lshrrev_b32_e32 v9, 8, v12
	v_mul_f64 v[32:33], v[32:33], s[18:19]
	v_and_or_b32 v13, 0x1ff, v14, v13
	v_cmp_ne_u32_e32 vcc_lo, 0, v2
	v_bfe_u32 v11, v12, 20, 11
	v_lshrrev_b32_e32 v21, 8, v14
	v_bfe_u32 v46, v14, 20, 11
	v_lshrrev_b32_e32 v12, 16, v12
	v_and_or_b32 v17, 0x1ff, v18, v17
	v_cndmask_b32_e64 v2, 0, 1, vcc_lo
	v_cmp_ne_u32_e32 vcc_lo, 0, v13
	v_and_or_b32 v19, 0x1ff, v20, v19
	v_mul_f64 v[34:35], v[34:35], s[18:19]
	v_lshrrev_b32_e32 v47, 8, v18
	v_and_or_b32 v26, 0x1ff, v27, v26
	v_cndmask_b32_e64 v13, 0, 1, vcc_lo
	v_cmp_ne_u32_e32 vcc_lo, 0, v17
	v_and_or_b32 v24, 0x1ff, v25, v24
	v_mul_f64 v[36:37], v[36:37], s[18:19]
	v_and_or_b32 v2, 0xffe, v9, v2
	v_and_or_b32 v28, 0x1ff, v29, v28
	v_cndmask_b32_e64 v17, 0, 1, vcc_lo
	v_cmp_ne_u32_e32 vcc_lo, 0, v19
	v_and_or_b32 v30, 0x1ff, v31, v30
	v_and_or_b32 v32, 0x1ff, v33, v32
	v_bfe_u32 v48, v18, 20, 11
	v_bfe_u32 v50, v20, 20, 11
	v_cndmask_b32_e64 v19, 0, 1, vcc_lo
	v_cmp_ne_u32_e32 vcc_lo, 0, v24
	v_sub_nc_u32_e32 v64, 0x3f1, v11
	v_add_nc_u32_e32 v11, 0xfffffc10, v11
	v_sub_nc_u32_e32 v65, 0x3f1, v46
	v_and_or_b32 v13, 0xffe, v21, v13
	v_cndmask_b32_e64 v24, 0, 1, vcc_lo
	v_cmp_ne_u32_e32 vcc_lo, 0, v26
	v_and_or_b32 v34, 0x1ff, v35, v34
	v_lshrrev_b32_e32 v49, 8, v20
	v_bfe_u32 v52, v25, 20, 11
	v_bfe_u32 v54, v27, 20, 11
	v_cndmask_b32_e64 v26, 0, 1, vcc_lo
	v_cmp_ne_u32_e32 vcc_lo, 0, v28
	v_and_or_b32 v36, 0x1ff, v37, v36
	v_add_nc_u32_e32 v46, 0xfffffc10, v46
	v_sub_nc_u32_e32 v66, 0x3f1, v48
	v_sub_nc_u32_e32 v67, 0x3f1, v50
	v_cndmask_b32_e64 v28, 0, 1, vcc_lo
	v_cmp_ne_u32_e32 vcc_lo, 0, v30
	v_med3_i32 v9, v64, 0, 13
	v_med3_i32 v21, v65, 0, 13
	v_and_or_b32 v17, 0xffe, v47, v17
	v_or_b32_e32 v64, 0x1000, v2
	v_cndmask_b32_e64 v30, 0, 1, vcc_lo
	v_cmp_ne_u32_e32 vcc_lo, 0, v32
	v_lshl_or_b32 v65, v11, 12, v2
	v_lshrrev_b32_e32 v51, 8, v25
	v_lshrrev_b32_e32 v53, 8, v27
	v_bfe_u32 v56, v29, 20, 11
	v_cndmask_b32_e64 v32, 0, 1, vcc_lo
	v_cmp_ne_u32_e32 vcc_lo, 0, v34
	v_bfe_u32 v58, v31, 20, 11
	v_add_nc_u32_e32 v48, 0xfffffc10, v48
	v_sub_nc_u32_e32 v68, 0x3f1, v52
	v_sub_nc_u32_e32 v69, 0x3f1, v54
	v_cndmask_b32_e64 v34, 0, 1, vcc_lo
	v_cmp_ne_u32_e32 vcc_lo, 0, v36
	v_med3_i32 v47, v66, 0, 13
	v_and_or_b32 v19, 0xffe, v49, v19
	v_med3_i32 v49, v67, 0, 13
	v_or_b32_e32 v66, 0x1000, v13
	v_cndmask_b32_e64 v36, 0, 1, vcc_lo
	v_cmp_ne_u32_e32 vcc_lo, 0, v2
	v_lshl_or_b32 v67, v46, 12, v13
	v_lshrrev_b32_e32 v55, 8, v29
	v_lshrrev_b32_e32 v57, 8, v31
	v_bfe_u32 v60, v33, 20, 11
	v_cndmask_b32_e64 v2, 0, 1, vcc_lo
	v_cmp_ne_u32_e32 vcc_lo, 0, v13
	v_bfe_u32 v62, v35, 20, 11
	v_add_nc_u32_e32 v50, 0xfffffc10, v50
	v_sub_nc_u32_e32 v70, 0x3f1, v56
	v_sub_nc_u32_e32 v71, 0x3f1, v58
	v_cndmask_b32_e64 v13, 0, 1, vcc_lo
	v_cmp_ne_u32_e32 vcc_lo, 0, v17
	v_and_or_b32 v24, 0xffe, v51, v24
	v_med3_i32 v51, v68, 0, 13
	v_and_or_b32 v26, 0xffe, v53, v26
	v_med3_i32 v53, v69, 0, 13
	v_or_b32_e32 v68, 0x1000, v17
	v_lshl_or_b32 v69, v48, 12, v17
	v_cndmask_b32_e64 v17, 0, 1, vcc_lo
	v_cmp_ne_u32_e32 vcc_lo, 0, v19
	v_lshrrev_b32_e32 v59, 8, v33
	v_lshrrev_b32_e32 v61, 8, v35
	v_add_nc_u32_e32 v52, 0xfffffc10, v52
	v_sub_nc_u32_e32 v72, 0x3f1, v60
	v_sub_nc_u32_e32 v73, 0x3f1, v62
	v_and_or_b32 v28, 0xffe, v55, v28
	v_med3_i32 v55, v70, 0, 13
	v_and_or_b32 v30, 0xffe, v57, v30
	v_med3_i32 v57, v71, 0, 13
	v_or_b32_e32 v70, 0x1000, v19
	v_lshl_or_b32 v71, v50, 12, v19
	v_cndmask_b32_e64 v19, 0, 1, vcc_lo
	v_cmp_ne_u32_e32 vcc_lo, 0, v24
	v_add_nc_u32_e32 v54, 0xfffffc10, v54
	v_and_or_b32 v32, 0xffe, v59, v32
	v_med3_i32 v59, v72, 0, 13
	v_and_or_b32 v34, 0xffe, v61, v34
	v_med3_i32 v61, v73, 0, 13
	v_or_b32_e32 v72, 0x1000, v24
	v_lshl_or_b32 v73, v52, 12, v24
	v_cndmask_b32_e64 v24, 0, 1, vcc_lo
	v_cmp_ne_u32_e32 vcc_lo, 0, v26
	v_add_nc_u32_e32 v56, 0xfffffc10, v56
	v_or_b32_e32 v74, 0x1000, v26
	v_lshl_or_b32 v75, v54, 12, v26
	v_add_nc_u32_e32 v58, 0xfffffc10, v58
	v_cndmask_b32_e64 v26, 0, 1, vcc_lo
	v_cmp_ne_u32_e32 vcc_lo, 0, v28
	v_or_b32_e32 v76, 0x1000, v28
	v_lshl_or_b32 v77, v56, 12, v28
	v_lshrrev_b32_e32 v84, v9, v64
	v_add_nc_u32_e32 v60, 0xfffffc10, v60
	v_cndmask_b32_e64 v28, 0, 1, vcc_lo
	v_cmp_ne_u32_e32 vcc_lo, 0, v30
	v_or_b32_e32 v78, 0x1000, v30
	v_lshl_or_b32 v79, v58, 12, v30
	v_lshrrev_b32_e32 v85, v21, v66
	v_lshlrev_b32_e32 v9, v9, v84
	v_cndmask_b32_e64 v30, 0, 1, vcc_lo
	v_cmp_ne_u32_e32 vcc_lo, 0, v32
	v_or_b32_e32 v80, 0x1000, v32
	v_lshl_or_b32 v81, v60, 12, v32
	v_lshrrev_b32_e32 v86, v47, v68
	v_lshlrev_b32_e32 v21, v21, v85
	v_cndmask_b32_e64 v32, 0, 1, vcc_lo
	v_cmp_ne_u32_e32 vcc_lo, v9, v64
	v_lshrrev_b32_e32 v87, v49, v70
	v_lshlrev_b32_e32 v47, v47, v86
	v_lshrrev_b32_e32 v88, v51, v72
	v_lshrrev_b32_e32 v89, v53, v74
	v_cndmask_b32_e64 v9, 0, 1, vcc_lo
	v_cmp_ne_u32_e32 vcc_lo, v21, v66
	v_lshlrev_b32_e32 v49, v49, v87
	v_lshlrev_b32_e32 v51, v51, v88
	v_lshrrev_b32_e32 v90, v55, v76
	v_lshlrev_b32_e32 v53, v53, v89
	v_cndmask_b32_e64 v21, 0, 1, vcc_lo
	v_cmp_ne_u32_e32 vcc_lo, v47, v68
	v_lshrrev_b32_e32 v91, v57, v78
	v_lshlrev_b32_e32 v55, v55, v90
	v_or_b32_e32 v82, 0x1000, v34
	v_lshrrev_b32_e32 v92, v59, v80
	v_cndmask_b32_e64 v47, 0, 1, vcc_lo
	v_cmp_ne_u32_e32 vcc_lo, v49, v70
	v_lshlrev_b32_e32 v57, v57, v91
	v_lshrrev_b32_e32 v93, v61, v82
	v_lshlrev_b32_e32 v59, v59, v92
	v_or_b32_e32 v9, v84, v9
	v_cndmask_b32_e64 v49, 0, 1, vcc_lo
	v_cmp_ne_u32_e32 vcc_lo, v51, v72
	v_lshlrev_b32_e32 v61, v61, v93
	v_or_b32_e32 v21, v85, v21
	v_or_b32_e32 v47, v86, v47
	;; [unrolled: 1-line block ×3, first 2 shown]
	v_cndmask_b32_e64 v51, 0, 1, vcc_lo
	v_cmp_ne_u32_e32 vcc_lo, v53, v74
	v_add_nc_u32_e32 v62, 0xfffffc10, v62
	v_lshl_or_b32 v2, v2, 9, 0x7c00
	v_lshl_or_b32 v13, v13, 9, 0x7c00
	v_or_b32_e32 v51, v88, v51
	v_cndmask_b32_e64 v53, 0, 1, vcc_lo
	v_cmp_ne_u32_e32 vcc_lo, v55, v76
	v_lshl_or_b32 v83, v62, 12, v34
	v_lshl_or_b32 v17, v17, 9, 0x7c00
	;; [unrolled: 1-line block ×3, first 2 shown]
	v_or_b32_e32 v53, v89, v53
	v_cndmask_b32_e64 v55, 0, 1, vcc_lo
	v_cmp_ne_u32_e32 vcc_lo, v57, v78
	v_lshl_or_b32 v24, v24, 9, 0x7c00
	v_lshl_or_b32 v26, v26, 9, 0x7c00
	v_lshrrev_b32_e32 v18, 16, v18
	v_or_b32_e32 v55, v90, v55
	v_cndmask_b32_e64 v57, 0, 1, vcc_lo
	v_cmp_ne_u32_e32 vcc_lo, v59, v80
	v_lshrrev_b32_e32 v20, 16, v20
	v_lshrrev_b32_e32 v25, 16, v25
	v_lshl_or_b32 v28, v28, 9, 0x7c00
	v_or_b32_e32 v57, v91, v57
	v_cndmask_b32_e64 v59, 0, 1, vcc_lo
	v_cmp_ne_u32_e32 vcc_lo, v61, v82
	v_lshrrev_b32_e32 v14, 16, v14
	v_lshrrev_b32_e32 v27, 16, v27
	v_lshl_or_b32 v30, v30, 9, 0x7c00
	v_or_b32_e32 v59, v92, v59
	v_cndmask_b32_e64 v61, 0, 1, vcc_lo
	v_cmp_gt_i32_e32 vcc_lo, 1, v11
	v_lshrrev_b32_e32 v29, 16, v29
	v_lshrrev_b32_e32 v31, 16, v31
	v_lshl_or_b32 v32, v32, 9, 0x7c00
	v_or_b32_e32 v61, v93, v61
	v_cndmask_b32_e32 v9, v65, v9, vcc_lo
	v_cmp_gt_i32_e32 vcc_lo, 1, v46
	v_lshrrev_b32_e32 v63, 8, v37
	v_and_b32_e32 v64, 7, v9
	v_cndmask_b32_e32 v21, v67, v21, vcc_lo
	v_cmp_gt_i32_e32 vcc_lo, 1, v48
	v_lshrrev_b32_e32 v9, 2, v9
	v_cmp_eq_u32_e64 s0, 3, v64
	v_and_b32_e32 v65, 7, v21
	v_cndmask_b32_e32 v47, v69, v47, vcc_lo
	v_cmp_gt_i32_e32 vcc_lo, 1, v50
	v_lshrrev_b32_e32 v21, 2, v21
	v_cmp_lt_i32_e64 s1, 5, v65
	v_and_b32_e32 v66, 7, v47
	v_cndmask_b32_e32 v49, v71, v49, vcc_lo
	v_cmp_gt_i32_e32 vcc_lo, 1, v52
	v_cmp_eq_u32_e64 s2, 3, v65
	v_lshrrev_b32_e32 v47, 2, v47
	v_cmp_lt_i32_e64 s3, 5, v66
	v_and_b32_e32 v67, 7, v49
	v_cndmask_b32_e32 v51, v73, v51, vcc_lo
	v_cmp_gt_i32_e32 vcc_lo, 1, v54
	v_cmp_eq_u32_e64 s4, 3, v66
	;; [unrolled: 6-line block ×6, first 2 shown]
	v_lshrrev_b32_e32 v57, 2, v57
	v_cmp_lt_i32_e64 s13, 5, v71
	v_and_b32_e32 v72, 7, v59
	v_cndmask_b32_e32 v61, v83, v61, vcc_lo
	v_cmp_lt_i32_e32 vcc_lo, 5, v64
	v_cmp_eq_u32_e64 s14, 3, v71
	v_lshrrev_b32_e32 v59, 2, v59
	v_cmp_lt_i32_e64 s15, 5, v72
	v_cmp_eq_u32_e64 s16, 3, v72
	s_or_b32 vcc_lo, s0, vcc_lo
	v_add_co_ci_u32_e32 v9, vcc_lo, 0, v9, vcc_lo
	s_or_b32 vcc_lo, s2, s1
	v_add_co_ci_u32_e32 v21, vcc_lo, 0, v21, vcc_lo
	s_or_b32 vcc_lo, s4, s3
	v_add_co_ci_u32_e32 v47, vcc_lo, 0, v47, vcc_lo
	s_or_b32 vcc_lo, s6, s5
	v_add_co_ci_u32_e32 v49, vcc_lo, 0, v49, vcc_lo
	s_or_b32 vcc_lo, s8, s7
	v_add_co_ci_u32_e32 v51, vcc_lo, 0, v51, vcc_lo
	s_or_b32 vcc_lo, s10, s9
	v_add_co_ci_u32_e32 v53, vcc_lo, 0, v53, vcc_lo
	s_or_b32 vcc_lo, s12, s11
	v_add_co_ci_u32_e32 v55, vcc_lo, 0, v55, vcc_lo
	s_or_b32 vcc_lo, s14, s13
	v_add_co_ci_u32_e32 v57, vcc_lo, 0, v57, vcc_lo
	s_or_b32 vcc_lo, s16, s15
	v_add_co_ci_u32_e32 v59, vcc_lo, 0, v59, vcc_lo
	v_cmp_gt_i32_e32 vcc_lo, 31, v11
	v_cndmask_b32_e32 v9, 0x7c00, v9, vcc_lo
	v_cmp_gt_i32_e32 vcc_lo, 31, v46
	v_cndmask_b32_e32 v21, 0x7c00, v21, vcc_lo
	;; [unrolled: 2-line block ×8, first 2 shown]
	v_cmp_eq_u32_e32 vcc_lo, 0x40f, v11
	v_cndmask_b32_e32 v2, v9, v2, vcc_lo
	v_cmp_eq_u32_e32 vcc_lo, 0x40f, v46
	v_and_or_b32 v2, 0x8000, v12, v2
	v_cndmask_b32_e32 v9, v21, v13, vcc_lo
	v_cmp_eq_u32_e32 vcc_lo, 0x40f, v48
	v_and_b32_e32 v2, 0xffff, v2
	v_and_or_b32 v9, 0x8000, v14, v9
	v_cndmask_b32_e32 v11, v47, v17, vcc_lo
	v_cmp_eq_u32_e32 vcc_lo, 0x40f, v50
	v_lshl_or_b32 v2, v9, 16, v2
	v_and_or_b32 v11, 0x8000, v18, v11
	v_cndmask_b32_e32 v13, v49, v19, vcc_lo
	v_cmp_eq_u32_e32 vcc_lo, 0x40f, v52
	v_and_b32_e32 v11, 0xffff, v11
	v_and_or_b32 v12, 0x8000, v20, v13
	v_cndmask_b32_e32 v17, v51, v24, vcc_lo
	v_cmp_eq_u32_e32 vcc_lo, 0x40f, v54
	v_lshl_or_b32 v9, v12, 16, v11
	v_and_or_b32 v13, 0x8000, v25, v17
	v_cndmask_b32_e32 v19, v53, v26, vcc_lo
	v_cmp_eq_u32_e32 vcc_lo, 0x40f, v56
	v_and_b32_e32 v13, 0xffff, v13
	v_and_or_b32 v14, 0x8000, v27, v19
	v_cndmask_b32_e32 v21, v55, v28, vcc_lo
	v_cmp_eq_u32_e32 vcc_lo, 0x40f, v58
	v_lshrrev_b32_e32 v19, 16, v3
	v_lshl_or_b32 v11, v14, 16, v13
	v_and_or_b32 v17, 0x8000, v29, v21
	v_cndmask_b32_e32 v24, v57, v30, vcc_lo
	v_cmp_gt_i32_e32 vcc_lo, 31, v60
	global_store_dword v[15:16], v2, off
	global_store_dword v[22:23], v9, off
	;; [unrolled: 1-line block ×3, first 2 shown]
	v_bfe_u32 v2, v37, 20, 11
	v_and_b32_e32 v17, 0xffff, v17
	v_and_or_b32 v18, 0x8000, v31, v24
	v_cndmask_b32_e32 v12, 0x7c00, v59, vcc_lo
	v_cmp_eq_u32_e32 vcc_lo, 0x40f, v60
	v_and_b32_e32 v9, 7, v61
	v_lshrrev_b32_e32 v15, 16, v33
	v_lshl_or_b32 v17, v18, 16, v17
	v_and_or_b32 v18, 0xffe, v63, v36
	v_cndmask_b32_e32 v13, v12, v32, vcc_lo
	v_sub_nc_u32_e32 v14, 0x3f1, v2
	v_cmp_lt_i32_e32 vcc_lo, 5, v9
	v_cmp_eq_u32_e64 s0, 3, v9
	v_mul_f64 v[11:12], v[44:45], s[18:19]
	v_and_or_b32 v9, 0x8000, v15, v13
	v_lshrrev_b32_e32 v13, 2, v61
	v_or_b32_e32 v16, 0x1000, v18
	v_med3_i32 v14, v14, 0, 13
	s_or_b32 vcc_lo, s0, vcc_lo
	s_waitcnt vmcnt(3)
	v_mul_f16_sdwa v20, v19, v10 dst_sel:DWORD dst_unused:UNUSED_PAD src0_sel:DWORD src1_sel:WORD_1
	v_add_co_ci_u32_e32 v13, vcc_lo, 0, v13, vcc_lo
	v_lshrrev_b32_e32 v15, v14, v16
	v_cmp_ne_u32_e32 vcc_lo, 0, v34
	v_fmac_f16_e32 v20, v3, v10
	v_add_nc_u32_e32 v22, 0xfffffc10, v2
	v_lshrrev_b32_e32 v23, 16, v35
	v_lshlrev_b32_e32 v14, v14, v15
	v_cndmask_b32_e64 v21, 0, 1, vcc_lo
	v_cmp_gt_i32_e32 vcc_lo, 31, v62
	v_cvt_f32_f16_e32 v2, v20
	v_and_b32_e32 v9, 0xffff, v9
	global_store_dword v[42:43], v17, off
	v_lshl_or_b32 v21, v21, 9, 0x7c00
	v_cndmask_b32_e32 v13, 0x7c00, v13, vcc_lo
	v_cmp_ne_u32_e32 vcc_lo, v14, v16
	v_and_or_b32 v11, 0x1ff, v12, v11
	v_lshrrev_b32_e32 v20, 8, v12
	v_mul_f16_sdwa v3, v3, v10 dst_sel:DWORD dst_unused:UNUSED_PAD src0_sel:DWORD src1_sel:WORD_1
	v_cndmask_b32_e64 v14, 0, 1, vcc_lo
	v_cmp_eq_u32_e32 vcc_lo, 0x40f, v62
	v_fma_f16 v3, v10, v19, -v3
	v_or_b32_e32 v15, v15, v14
	v_cndmask_b32_e32 v16, v13, v21, vcc_lo
	v_cmp_ne_u32_e32 vcc_lo, 0, v11
	v_cvt_f64_f32_e32 v[13:14], v2
	v_lshl_or_b32 v2, v22, 12, v18
	v_bfe_u32 v21, v12, 20, 11
	v_cvt_f32_f16_e32 v3, v3
	v_cndmask_b32_e64 v11, 0, 1, vcc_lo
	v_cmp_gt_i32_e32 vcc_lo, 1, v22
	v_add_nc_u32_e32 v19, 0xfffffc10, v21
	v_and_or_b32 v11, 0xffe, v20, v11
	v_cndmask_b32_e32 v24, v2, v15, vcc_lo
	v_sub_nc_u32_e32 v2, 0x3f1, v21
	v_and_or_b32 v15, 0x8000, v23, v16
	v_or_b32_e32 v20, 0x1000, v11
	v_and_b32_e32 v16, 7, v24
	v_med3_i32 v23, v2, 0, 13
	v_lshl_or_b32 v25, v15, 16, v9
	v_lshrrev_b32_e32 v17, 2, v24
	global_load_dword v2, v[0:1], off offset:1152
	v_cmp_lt_i32_e32 vcc_lo, 5, v16
	v_lshrrev_b32_e32 v9, v23, v20
	v_cmp_eq_u32_e64 s0, 3, v16
	v_mul_f64 v[13:14], v[13:14], s[18:19]
	v_add_co_u32 v15, s1, v42, s17
	v_lshlrev_b32_e32 v23, v23, v9
	s_or_b32 vcc_lo, s0, vcc_lo
	v_add_co_ci_u32_e64 v16, s1, s22, v43, s1
	v_add_co_ci_u32_e32 v17, vcc_lo, 0, v17, vcc_lo
	v_cmp_ne_u32_e32 vcc_lo, v23, v20
	v_cndmask_b32_e64 v10, 0, 1, vcc_lo
	v_cmp_ne_u32_e32 vcc_lo, 0, v18
	v_or_b32_e32 v20, v9, v10
	v_cndmask_b32_e64 v18, 0, 1, vcc_lo
	v_cmp_gt_i32_e32 vcc_lo, 31, v22
	v_cvt_f64_f32_e32 v[9:10], v3
	v_lshl_or_b32 v3, v19, 12, v11
	v_and_or_b32 v13, 0x1ff, v14, v13
	v_lshl_or_b32 v18, v18, 9, 0x7c00
	v_cndmask_b32_e32 v17, 0x7c00, v17, vcc_lo
	v_cmp_gt_i32_e32 vcc_lo, 1, v19
	v_bfe_u32 v24, v14, 20, 11
	v_cndmask_b32_e32 v3, v3, v20, vcc_lo
	v_cmp_eq_u32_e32 vcc_lo, 0x40f, v22
	v_add_nc_u32_e32 v20, 0x800, v38
	v_lshrrev_b32_e32 v22, 16, v37
	v_and_b32_e32 v23, 7, v3
	v_cndmask_b32_e32 v21, v17, v18, vcc_lo
	v_cmp_ne_u32_e32 vcc_lo, 0, v13
	ds_read2_b32 v[17:18], v20 offset0:48 offset1:128
	v_lshrrev_b32_e32 v20, 8, v14
	v_cmp_eq_u32_e64 s0, 3, v23
	v_lshrrev_b32_e32 v3, 2, v3
	v_cndmask_b32_e64 v13, 0, 1, vcc_lo
	v_cmp_lt_i32_e32 vcc_lo, 5, v23
	v_mul_f64 v[9:10], v[9:10], s[18:19]
	s_clause 0x1
	global_load_dword v28, v[0:1], off offset:1472
	global_load_dword v29, v[0:1], off offset:1792
	v_and_or_b32 v21, 0x8000, v22, v21
	v_and_or_b32 v13, 0xffe, v20, v13
	v_sub_nc_u32_e32 v20, 0x3f1, v24
	s_or_b32 vcc_lo, s0, vcc_lo
	global_store_dword v[15:16], v25, off
	v_add_co_ci_u32_e32 v3, vcc_lo, 0, v3, vcc_lo
	v_cmp_ne_u32_e32 vcc_lo, 0, v11
	v_or_b32_e32 v23, 0x1000, v13
	v_med3_i32 v20, v20, 0, 13
	v_lshrrev_b32_e32 v14, 16, v14
	v_cndmask_b32_e64 v11, 0, 1, vcc_lo
	v_cmp_gt_i32_e32 vcc_lo, 31, v19
	v_lshrrev_b32_e32 v27, v20, v23
	s_waitcnt lgkmcnt(0)
	v_lshrrev_b32_e32 v26, 16, v17
	v_lshl_or_b32 v11, v11, 9, 0x7c00
	v_cndmask_b32_e32 v3, 0x7c00, v3, vcc_lo
	v_lshlrev_b32_e32 v1, v20, v27
	v_cmp_eq_u32_e32 vcc_lo, 0x40f, v19
	s_waitcnt vmcnt(4)
	v_mul_f16_sdwa v0, v26, v8 dst_sel:DWORD dst_unused:UNUSED_PAD src0_sel:DWORD src1_sel:WORD_1
	v_and_or_b32 v9, 0x1ff, v10, v9
	v_add_nc_u32_e32 v19, 0xfffffc10, v24
	v_bfe_u32 v20, v10, 20, 11
	v_cndmask_b32_e32 v3, v3, v11, vcc_lo
	v_cmp_ne_u32_e32 vcc_lo, v1, v23
	v_fmac_f16_e32 v0, v17, v8
	v_lshrrev_b32_e32 v11, 8, v10
	v_lshl_or_b32 v23, v19, 12, v13
	v_lshrrev_b32_e32 v10, 16, v10
	v_cndmask_b32_e64 v1, 0, 1, vcc_lo
	v_cmp_ne_u32_e32 vcc_lo, 0, v9
	v_cvt_f32_f16_e32 v0, v0
	v_or_b32_e32 v22, v27, v1
	v_cndmask_b32_e64 v9, 0, 1, vcc_lo
	v_cvt_f64_f32_e32 v[0:1], v0
	v_cmp_gt_i32_e32 vcc_lo, 1, v19
	v_and_or_b32 v24, 0xffe, v11, v9
	v_sub_nc_u32_e32 v9, 0x3f1, v20
	v_lshrrev_b32_e32 v11, 16, v12
	v_cndmask_b32_e32 v12, v23, v22, vcc_lo
	v_or_b32_e32 v22, 0x1000, v24
	v_med3_i32 v9, v9, 0, 13
	v_and_or_b32 v3, 0x8000, v11, v3
	v_mul_f16_sdwa v11, v17, v8 dst_sel:DWORD dst_unused:UNUSED_PAD src0_sel:DWORD src1_sel:WORD_1
	v_and_b32_e32 v17, 0xffff, v21
	v_and_b32_e32 v21, 7, v12
	v_lshrrev_b32_e32 v23, v9, v22
	v_fma_f16 v8, v8, v26, -v11
	v_lshrrev_b32_e32 v11, 2, v12
	v_cmp_lt_i32_e32 vcc_lo, 5, v21
	v_lshlrev_b32_e32 v9, v9, v23
	v_cmp_eq_u32_e64 s0, 3, v21
	v_cvt_f32_f16_e32 v8, v8
	v_mul_f64 v[0:1], v[0:1], s[18:19]
	v_lshl_or_b32 v3, v3, 16, v17
	v_cmp_ne_u32_e64 s1, v9, v22
	s_or_b32 vcc_lo, s0, vcc_lo
	v_cvt_f64_f32_e32 v[8:9], v8
	v_add_co_ci_u32_e32 v11, vcc_lo, 0, v11, vcc_lo
	v_cmp_ne_u32_e32 vcc_lo, 0, v13
	v_cndmask_b32_e64 v12, 0, 1, s1
	v_add_nc_u32_e32 v17, 0xfffffc10, v20
	v_cndmask_b32_e64 v13, 0, 1, vcc_lo
	v_cmp_gt_i32_e32 vcc_lo, 31, v19
	v_or_b32_e32 v12, v23, v12
	v_lshl_or_b32 v20, v17, 12, v24
	v_lshl_or_b32 v13, v13, 9, 0x7c00
	v_cndmask_b32_e32 v21, 0x7c00, v11, vcc_lo
	v_cmp_gt_i32_e32 vcc_lo, 1, v17
	v_and_or_b32 v0, 0x1ff, v1, v0
	v_cndmask_b32_e32 v20, v20, v12, vcc_lo
	v_add_co_u32 v11, vcc_lo, v15, s17
	v_mul_f64 v[8:9], v[8:9], s[18:19]
	v_add_co_ci_u32_e32 v12, vcc_lo, s22, v16, vcc_lo
	v_and_b32_e32 v15, 7, v20
	v_cmp_eq_u32_e32 vcc_lo, 0x40f, v19
	v_cmp_ne_u32_e64 s0, 0, v0
	v_lshrrev_b32_e32 v16, 8, v1
	v_bfe_u32 v19, v1, 20, 11
	global_store_dword v[11:12], v3, off
	v_cndmask_b32_e32 v13, v21, v13, vcc_lo
	v_cmp_lt_i32_e32 vcc_lo, 5, v15
	v_cndmask_b32_e64 v0, 0, 1, s0
	v_cmp_eq_u32_e64 s0, 3, v15
	v_lshrrev_b32_e32 v15, 2, v20
	v_lshrrev_b32_e32 v21, 16, v18
	v_and_or_b32 v22, 0x8000, v14, v13
	v_and_or_b32 v0, 0xffe, v16, v0
	s_or_b32 vcc_lo, s0, vcc_lo
	v_sub_nc_u32_e32 v16, 0x3f1, v19
	v_add_co_ci_u32_e32 v15, vcc_lo, 0, v15, vcc_lo
	v_cmp_gt_i32_e32 vcc_lo, 31, v17
	v_or_b32_e32 v20, 0x1000, v0
	v_med3_i32 v16, v16, 0, 13
	v_and_or_b32 v8, 0x1ff, v9, v8
	v_mul_f16_sdwa v13, v21, v6 dst_sel:DWORD dst_unused:UNUSED_PAD src0_sel:DWORD src1_sel:WORD_1
	v_cndmask_b32_e32 v15, 0x7c00, v15, vcc_lo
	v_cmp_ne_u32_e32 vcc_lo, 0, v24
	v_lshrrev_b32_e32 v23, v16, v20
	v_bfe_u32 v25, v9, 20, 11
	v_fmac_f16_e32 v13, v18, v6
	v_add_nc_u32_e32 v19, 0xfffffc10, v19
	v_cndmask_b32_e64 v24, 0, 1, vcc_lo
	v_cmp_ne_u32_e32 vcc_lo, 0, v8
	v_lshlrev_b32_e32 v14, v16, v23
	v_lshrrev_b32_e32 v16, 8, v9
	v_cvt_f32_f16_e32 v13, v13
	v_lshl_or_b32 v24, v24, 9, 0x7c00
	v_cndmask_b32_e64 v8, 0, 1, vcc_lo
	v_cmp_ne_u32_e32 vcc_lo, v14, v20
	v_lshrrev_b32_e32 v1, 16, v1
	v_cvt_f64_f32_e32 v[13:14], v13
	v_and_b32_e32 v22, 0xffff, v22
	v_and_or_b32 v8, 0xffe, v16, v8
	v_sub_nc_u32_e32 v16, 0x3f1, v25
	v_cndmask_b32_e64 v20, 0, 1, vcc_lo
	v_cmp_eq_u32_e32 vcc_lo, 0x40f, v17
	v_lshrrev_b32_e32 v9, 16, v9
	v_or_b32_e32 v26, 0x1000, v8
	v_med3_i32 v16, v16, 0, 13
	v_or_b32_e32 v20, v23, v20
	v_lshl_or_b32 v23, v19, 12, v0
	v_cndmask_b32_e32 v15, v15, v24, vcc_lo
	v_cmp_gt_i32_e32 vcc_lo, 1, v19
	v_lshrrev_b32_e32 v17, v16, v26
	v_and_or_b32 v10, 0x8000, v10, v15
	v_cndmask_b32_e32 v20, v23, v20, vcc_lo
	v_lshlrev_b32_e32 v3, v16, v17
	v_mul_f16_sdwa v16, v18, v6 dst_sel:DWORD dst_unused:UNUSED_PAD src0_sel:DWORD src1_sel:WORD_1
	v_add_nc_u32_e32 v23, 0xfffffc10, v25
	v_and_b32_e32 v15, 7, v20
	v_cmp_ne_u32_e32 vcc_lo, v3, v26
	v_mul_f64 v[13:14], v[13:14], s[18:19]
	v_fma_f16 v6, v6, v21, -v16
	v_lshl_or_b32 v16, v23, 12, v8
	v_cmp_eq_u32_e64 s0, 3, v15
	v_cndmask_b32_e64 v3, 0, 1, vcc_lo
	v_cmp_lt_i32_e32 vcc_lo, 5, v15
	v_lshrrev_b32_e32 v15, 2, v20
	v_cmp_gt_i32_e64 s1, 1, v23
	v_cvt_f32_f16_e32 v6, v6
	v_or_b32_e32 v3, v17, v3
	s_or_b32 vcc_lo, s0, vcc_lo
	v_add_co_ci_u32_e32 v17, vcc_lo, 0, v15, vcc_lo
	v_cndmask_b32_e64 v3, v16, v3, s1
	v_cmp_ne_u32_e32 vcc_lo, 0, v0
	v_cvt_f64_f32_e32 v[15:16], v6
	v_and_b32_e32 v6, 7, v3
	v_cndmask_b32_e64 v0, 0, 1, vcc_lo
	v_cmp_gt_i32_e32 vcc_lo, 31, v19
	v_lshrrev_b32_e32 v3, 2, v3
	v_lshrrev_b32_e32 v21, 8, v14
	v_cmp_eq_u32_e64 s0, 3, v6
	v_lshl_or_b32 v0, v0, 9, 0x7c00
	v_cndmask_b32_e32 v20, 0x7c00, v17, vcc_lo
	v_cmp_lt_i32_e32 vcc_lo, 5, v6
	v_and_or_b32 v6, 0x1ff, v14, v13
	v_add_nc_u32_e32 v13, 0xa00, v38
	s_or_b32 vcc_lo, s0, vcc_lo
	v_add_co_ci_u32_e32 v3, vcc_lo, 0, v3, vcc_lo
	v_cmp_ne_u32_e32 vcc_lo, 0, v6
	ds_read2_b32 v[17:18], v13 offset0:80 offset1:160
	v_bfe_u32 v13, v14, 20, 11
	v_mul_f64 v[15:16], v[15:16], s[18:19]
	v_cndmask_b32_e64 v6, 0, 1, vcc_lo
	v_cmp_ne_u32_e32 vcc_lo, 0, v8
	v_and_or_b32 v6, 0xffe, v21, v6
	v_cndmask_b32_e64 v8, 0, 1, vcc_lo
	v_cmp_gt_i32_e32 vcc_lo, 31, v23
	v_sub_nc_u32_e32 v21, 0x3f1, v13
	v_add_nc_u32_e32 v13, 0xfffffc10, v13
	v_or_b32_e32 v24, 0x1000, v6
	v_lshl_or_b32 v8, v8, 9, 0x7c00
	v_cndmask_b32_e32 v3, 0x7c00, v3, vcc_lo
	v_cmp_eq_u32_e32 vcc_lo, 0x40f, v19
	v_med3_i32 v21, v21, 0, 13
	s_waitcnt lgkmcnt(0)
	v_lshrrev_b32_e32 v19, 16, v17
	v_cndmask_b32_e32 v0, v20, v0, vcc_lo
	v_cmp_eq_u32_e32 vcc_lo, 0x40f, v23
	v_lshl_or_b32 v20, v10, 16, v22
	v_lshl_or_b32 v22, v13, 12, v6
	v_and_or_b32 v0, 0x8000, v1, v0
	v_cndmask_b32_e32 v3, v3, v8, vcc_lo
	v_lshrrev_b32_e32 v8, v21, v24
	v_and_b32_e32 v10, 0xffff, v0
	s_waitcnt vmcnt(3)
	v_mul_f16_sdwa v0, v19, v7 dst_sel:DWORD dst_unused:UNUSED_PAD src0_sel:DWORD src1_sel:WORD_1
	v_lshlrev_b32_e32 v1, v21, v8
	v_and_or_b32 v3, 0x8000, v9, v3
	v_and_or_b32 v9, 0x1ff, v16, v15
	v_lshrrev_b32_e32 v15, 8, v16
	v_fmac_f16_e32 v0, v17, v7
	v_cmp_ne_u32_e32 vcc_lo, v1, v24
	v_bfe_u32 v21, v16, 20, 11
	v_lshl_or_b32 v3, v3, 16, v10
	v_lshrrev_b32_e32 v16, 16, v16
	v_cvt_f32_f16_e32 v0, v0
	v_cndmask_b32_e64 v1, 0, 1, vcc_lo
	v_cmp_ne_u32_e32 vcc_lo, 0, v9
	v_or_b32_e32 v8, v8, v1
	v_cvt_f64_f32_e32 v[0:1], v0
	v_cndmask_b32_e64 v9, 0, 1, vcc_lo
	v_cmp_gt_i32_e32 vcc_lo, 1, v13
	v_and_or_b32 v15, 0xffe, v15, v9
	v_sub_nc_u32_e32 v9, 0x3f1, v21
	v_cndmask_b32_e32 v22, v22, v8, vcc_lo
	v_add_co_u32 v8, vcc_lo, v11, s17
	v_or_b32_e32 v23, 0x1000, v15
	v_med3_i32 v24, v9, 0, 13
	v_add_co_ci_u32_e32 v9, vcc_lo, s22, v12, vcc_lo
	v_and_b32_e32 v12, 7, v22
	v_add_co_u32 v10, vcc_lo, v8, s17
	v_add_co_ci_u32_e32 v11, vcc_lo, s22, v9, vcc_lo
	v_cmp_lt_i32_e32 vcc_lo, 5, v12
	v_cmp_eq_u32_e64 s0, 3, v12
	v_mul_f16_sdwa v12, v17, v7 dst_sel:DWORD dst_unused:UNUSED_PAD src0_sel:DWORD src1_sel:WORD_1
	v_lshrrev_b32_e32 v25, v24, v23
	v_mul_f64 v[0:1], v[0:1], s[18:19]
	v_lshrrev_b32_e32 v17, 2, v22
	s_or_b32 vcc_lo, s0, vcc_lo
	v_fma_f16 v7, v7, v19, -v12
	v_lshlrev_b32_e32 v24, v24, v25
	v_add_nc_u32_e32 v12, 0xfffffc10, v21
	v_add_co_ci_u32_e32 v17, vcc_lo, 0, v17, vcc_lo
	v_cvt_f32_f16_e32 v7, v7
	v_cmp_ne_u32_e64 s1, v24, v23
	v_cmp_ne_u32_e32 vcc_lo, 0, v6
	v_lshl_or_b32 v21, v12, 12, v15
	global_store_dword v[8:9], v20, off
	global_store_dword v[10:11], v3, off
	v_cvt_f64_f32_e32 v[6:7], v7
	v_cndmask_b32_e64 v22, 0, 1, s1
	v_lshrrev_b32_e32 v9, 16, v14
	v_or_b32_e32 v19, v25, v22
	v_cndmask_b32_e64 v22, 0, 1, vcc_lo
	v_cmp_gt_i32_e32 vcc_lo, 1, v12
	v_and_or_b32 v0, 0x1ff, v1, v0
	v_bfe_u32 v14, v1, 20, 11
	v_cndmask_b32_e32 v19, v21, v19, vcc_lo
	v_cmp_gt_i32_e32 vcc_lo, 31, v13
	v_cmp_ne_u32_e64 s1, 0, v0
	v_lshl_or_b32 v21, v22, 9, 0x7c00
	v_and_b32_e32 v3, 7, v19
	v_cndmask_b32_e32 v17, 0x7c00, v17, vcc_lo
	v_cmp_eq_u32_e32 vcc_lo, 0x40f, v13
	v_cndmask_b32_e64 v0, 0, 1, s1
	v_lshrrev_b32_e32 v13, 8, v1
	v_cmp_eq_u32_e64 s0, 3, v3
	v_mul_f64 v[6:7], v[6:7], s[18:19]
	v_cndmask_b32_e32 v8, v17, v21, vcc_lo
	v_cmp_lt_i32_e32 vcc_lo, 5, v3
	v_lshrrev_b32_e32 v3, 2, v19
	v_and_or_b32 v17, 0xffe, v13, v0
	v_sub_nc_u32_e32 v0, 0x3f1, v14
	v_lshrrev_b32_e32 v19, 16, v18
	s_or_b32 vcc_lo, s0, vcc_lo
	v_and_or_b32 v21, 0x8000, v9, v8
	v_add_co_ci_u32_e32 v3, vcc_lo, 0, v3, vcc_lo
	v_cmp_ne_u32_e32 vcc_lo, 0, v15
	v_or_b32_e32 v15, 0x1000, v17
	v_med3_i32 v0, v0, 0, 13
	s_waitcnt vmcnt(2)
	v_mul_f16_sdwa v20, v19, v2 dst_sel:DWORD dst_unused:UNUSED_PAD src0_sel:DWORD src1_sel:WORD_1
	v_mad_u64_u32 v[8:9], null, s20, v39, 0
	v_cndmask_b32_e64 v13, 0, 1, vcc_lo
	v_cmp_gt_i32_e32 vcc_lo, 31, v12
	v_lshrrev_b32_e32 v22, v0, v15
	v_fmac_f16_e32 v20, v18, v2
	v_lshl_or_b32 v13, v13, 9, 0x7c00
	v_cndmask_b32_e32 v3, 0x7c00, v3, vcc_lo
	v_cmp_eq_u32_e32 vcc_lo, 0x40f, v12
	v_lshlrev_b32_e32 v0, v0, v22
	v_and_or_b32 v6, 0x1ff, v7, v6
	v_cvt_f32_f16_e32 v12, v20
	v_add_nc_u32_e32 v20, 0xfffffc10, v14
	v_cndmask_b32_e32 v3, v3, v13, vcc_lo
	v_cmp_ne_u32_e32 vcc_lo, v0, v15
	v_lshrrev_b32_e32 v14, 8, v7
	v_cvt_f64_f32_e32 v[12:13], v12
	v_bfe_u32 v23, v7, 20, 11
	v_and_or_b32 v3, 0x8000, v16, v3
	v_cndmask_b32_e64 v0, 0, 1, vcc_lo
	v_cmp_ne_u32_e32 vcc_lo, 0, v6
	v_and_b32_e32 v16, 0xffff, v21
	v_or_b32_e32 v15, v22, v0
	v_cndmask_b32_e64 v6, 0, 1, vcc_lo
	v_lshl_or_b32 v22, v20, 12, v17
	v_cmp_gt_i32_e32 vcc_lo, 1, v20
	v_mov_b32_e32 v0, v9
	v_sub_nc_u32_e32 v9, 0x3f1, v23
	v_and_or_b32 v6, 0xffe, v14, v6
	v_lshl_or_b32 v16, v3, 16, v16
	v_cndmask_b32_e32 v22, v22, v15, vcc_lo
	v_mad_u64_u32 v[14:15], null, s21, v39, v[0:1]
	v_or_b32_e32 v0, 0x1000, v6
	v_med3_i32 v15, v9, 0, 13
	v_and_b32_e32 v9, 7, v22
	v_mul_f64 v[12:13], v[12:13], s[18:19]
	v_lshrrev_b32_e32 v1, 16, v1
	v_lshrrev_b32_e32 v21, v15, v0
	v_cmp_lt_i32_e32 vcc_lo, 5, v9
	v_cmp_eq_u32_e64 s0, 3, v9
	v_mov_b32_e32 v9, v14
	v_lshrrev_b32_e32 v14, 2, v22
	v_lshlrev_b32_e32 v15, v15, v21
	v_add_nc_u32_e32 v22, 0xfffffc10, v23
	s_or_b32 vcc_lo, s0, vcc_lo
	v_lshlrev_b64 v[8:9], 2, v[8:9]
	v_add_co_ci_u32_e32 v3, vcc_lo, 0, v14, vcc_lo
	v_cmp_ne_u32_e32 vcc_lo, v15, v0
	v_mul_f16_sdwa v15, v18, v2 dst_sel:DWORD dst_unused:UNUSED_PAD src0_sel:DWORD src1_sel:WORD_1
	v_cndmask_b32_e64 v0, 0, 1, vcc_lo
	v_cmp_gt_i32_e32 vcc_lo, 31, v20
	v_fma_f16 v15, v2, v19, -v15
	v_and_or_b32 v12, 0x1ff, v13, v12
	v_bfe_u32 v18, v13, 20, 11
	v_or_b32_e32 v0, v21, v0
	v_cndmask_b32_e32 v23, 0x7c00, v3, vcc_lo
	v_cmp_ne_u32_e32 vcc_lo, 0, v17
	v_lshl_or_b32 v3, v22, 12, v6
	v_add_nc_u32_e32 v17, 0xc00, v38
	v_cvt_f32_f16_e32 v15, v15
	v_cndmask_b32_e64 v14, 0, 1, vcc_lo
	v_cmp_gt_i32_e32 vcc_lo, 1, v22
	v_lshl_or_b32 v19, v14, 9, 0x7c00
	v_cndmask_b32_e32 v0, v3, v0, vcc_lo
	v_cmp_ne_u32_e32 vcc_lo, 0, v12
	ds_read2_b32 v[2:3], v17 offset0:112 offset1:192
	v_lshrrev_b32_e32 v17, 8, v13
	v_cvt_f64_f32_e32 v[14:15], v15
	v_and_b32_e32 v21, 7, v0
	v_cndmask_b32_e64 v12, 0, 1, vcc_lo
	v_cmp_eq_u32_e32 vcc_lo, 0x40f, v20
	v_lshrrev_b32_e32 v0, 2, v0
	v_cmp_eq_u32_e64 s0, 3, v21
	v_and_or_b32 v12, 0xffe, v17, v12
	v_cndmask_b32_e32 v19, v23, v19, vcc_lo
	v_cmp_lt_i32_e32 vcc_lo, 5, v21
	v_sub_nc_u32_e32 v17, 0x3f1, v18
	v_or_b32_e32 v20, 0x1000, v12
	v_and_or_b32 v19, 0x8000, v1, v19
	s_or_b32 vcc_lo, s0, vcc_lo
	v_med3_i32 v17, v17, 0, 13
	v_add_co_ci_u32_e32 v0, vcc_lo, 0, v0, vcc_lo
	v_cmp_ne_u32_e32 vcc_lo, 0, v6
	s_waitcnt lgkmcnt(0)
	v_lshrrev_b32_e32 v23, 16, v2
	v_lshrrev_b32_e32 v21, v17, v20
	v_cndmask_b32_e64 v6, 0, 1, vcc_lo
	v_cmp_gt_i32_e32 vcc_lo, 31, v22
	s_waitcnt vmcnt(1)
	v_mul_f16_sdwa v24, v23, v28 dst_sel:DWORD dst_unused:UNUSED_PAD src0_sel:DWORD src1_sel:WORD_1
	v_lshlrev_b32_e32 v17, v17, v21
	v_lshl_or_b32 v6, v6, 9, 0x7c00
	v_cndmask_b32_e32 v25, 0x7c00, v0, vcc_lo
	v_mul_f64 v[0:1], v[14:15], s[18:19]
	v_fmac_f16_e32 v24, v2, v28
	v_cmp_ne_u32_e32 vcc_lo, v17, v20
	v_add_nc_u32_e32 v15, 0xfffffc10, v18
	v_lshrrev_b32_e32 v20, 16, v7
	v_mul_f16_sdwa v2, v2, v28 dst_sel:DWORD dst_unused:UNUSED_PAD src0_sel:DWORD src1_sel:WORD_1
	v_cvt_f32_f16_e32 v17, v24
	v_cndmask_b32_e64 v14, 0, 1, vcc_lo
	v_cmp_eq_u32_e32 vcc_lo, 0x40f, v22
	v_fma_f16 v2, v28, v23, -v2
	v_or_b32_e32 v14, v21, v14
	v_cndmask_b32_e32 v18, v25, v6, vcc_lo
	v_cvt_f64_f32_e32 v[6:7], v17
	v_lshl_or_b32 v21, v15, 12, v12
	v_cmp_gt_i32_e32 vcc_lo, 1, v15
	v_cvt_f32_f16_e32 v2, v2
	v_and_or_b32 v17, 0x8000, v20, v18
	v_and_b32_e32 v18, 0xffff, v19
	v_cndmask_b32_e32 v14, v21, v14, vcc_lo
	v_and_or_b32 v0, 0x1ff, v1, v0
	v_add_co_u32 v4, vcc_lo, v4, v8
	v_add_co_ci_u32_e32 v5, vcc_lo, v5, v9, vcc_lo
	v_cmp_ne_u32_e64 s0, 0, v0
	v_and_b32_e32 v19, 7, v14
	v_mad_u64_u32 v[8:9], null, 0x280, s20, v[10:11]
	v_lshrrev_b32_e32 v10, 8, v1
	v_cndmask_b32_e64 v0, 0, 1, s0
	v_bfe_u32 v11, v1, 20, 11
	v_cmp_lt_i32_e32 vcc_lo, 5, v19
	v_cmp_eq_u32_e64 s0, 3, v19
	v_mul_f64 v[6:7], v[6:7], s[18:19]
	v_lshrrev_b32_e32 v14, 2, v14
	v_lshl_or_b32 v17, v17, 16, v18
	v_and_or_b32 v18, 0xffe, v10, v0
	v_sub_nc_u32_e32 v0, 0x3f1, v11
	s_or_b32 vcc_lo, s0, vcc_lo
	v_add_co_ci_u32_e32 v10, vcc_lo, 0, v14, vcc_lo
	v_or_b32_e32 v14, 0x1000, v18
	v_med3_i32 v19, v0, 0, 13
	v_cmp_ne_u32_e32 vcc_lo, 0, v12
	v_mov_b32_e32 v0, v9
	v_lshrrev_b32_e32 v21, v19, v14
	v_cndmask_b32_e64 v12, 0, 1, vcc_lo
	v_cmp_gt_i32_e32 vcc_lo, 31, v15
	v_lshl_or_b32 v12, v12, 9, 0x7c00
	v_cndmask_b32_e32 v20, 0x7c00, v10, vcc_lo
	v_mad_u64_u32 v[9:10], null, 0x280, s21, v[0:1]
	v_lshlrev_b32_e32 v0, v19, v21
	v_cmp_eq_u32_e32 vcc_lo, 0x40f, v15
	v_and_or_b32 v6, 0x1ff, v7, v6
	v_lshrrev_b32_e32 v15, 8, v7
	v_bfe_u32 v19, v7, 20, 11
	v_lshrrev_b32_e32 v7, 16, v7
	v_cndmask_b32_e32 v12, v20, v12, vcc_lo
	v_cmp_ne_u32_e32 vcc_lo, v0, v14
	v_add_nc_u32_e32 v14, 0xfffffc10, v11
	v_cvt_f64_f32_e32 v[10:11], v2
	v_lshrrev_b32_e32 v20, 16, v3
	v_cndmask_b32_e64 v0, 0, 1, vcc_lo
	v_cmp_ne_u32_e32 vcc_lo, 0, v6
	v_lshl_or_b32 v2, v14, 12, v18
	v_or_b32_e32 v0, v21, v0
	v_cndmask_b32_e64 v6, 0, 1, vcc_lo
	v_cmp_gt_i32_e32 vcc_lo, 1, v14
	v_and_or_b32 v6, 0xffe, v15, v6
	v_sub_nc_u32_e32 v15, 0x3f1, v19
	v_cndmask_b32_e32 v0, v2, v0, vcc_lo
	v_lshrrev_b32_e32 v2, 16, v13
	v_add_nc_u32_e32 v19, 0xfffffc10, v19
	v_or_b32_e32 v21, 0x1000, v6
	v_med3_i32 v13, v15, 0, 13
	v_and_b32_e32 v22, 7, v0
	s_waitcnt vmcnt(0)
	v_mul_f16_sdwa v15, v20, v29 dst_sel:DWORD dst_unused:UNUSED_PAD src0_sel:DWORD src1_sel:WORD_1
	v_and_or_b32 v23, 0x8000, v2, v12
	v_lshrrev_b32_e32 v0, 2, v0
	v_lshrrev_b32_e32 v2, v13, v21
	v_cmp_lt_i32_e32 vcc_lo, 5, v22
	v_cmp_eq_u32_e64 s0, 3, v22
	v_fmac_f16_e32 v15, v3, v29
	v_mul_f64 v[10:11], v[10:11], s[18:19]
	v_lshlrev_b32_e32 v22, v13, v2
	v_mul_f16_sdwa v3, v3, v29 dst_sel:DWORD dst_unused:UNUSED_PAD src0_sel:DWORD src1_sel:WORD_1
	s_or_b32 vcc_lo, s0, vcc_lo
	v_cvt_f32_f16_e32 v12, v15
	v_add_co_ci_u32_e32 v0, vcc_lo, 0, v0, vcc_lo
	v_cmp_ne_u32_e32 vcc_lo, v22, v21
	v_fma_f16 v3, v29, v20, -v3
	v_cvt_f64_f32_e32 v[12:13], v12
	v_cndmask_b32_e64 v15, 0, 1, vcc_lo
	v_cmp_ne_u32_e32 vcc_lo, 0, v18
	v_or_b32_e32 v2, v2, v15
	v_cndmask_b32_e64 v18, 0, 1, vcc_lo
	v_cmp_gt_i32_e32 vcc_lo, 31, v14
	v_lshl_or_b32 v15, v19, 12, v6
	v_and_or_b32 v10, 0x1ff, v11, v10
	v_lshl_or_b32 v18, v18, 9, 0x7c00
	v_cndmask_b32_e32 v0, 0x7c00, v0, vcc_lo
	v_cmp_gt_i32_e32 vcc_lo, 1, v19
	v_cndmask_b32_e32 v15, v15, v2, vcc_lo
	v_cvt_f32_f16_e32 v2, v3
	v_cmp_eq_u32_e32 vcc_lo, 0x40f, v14
	v_and_b32_e32 v20, 7, v15
	v_lshrrev_b32_e32 v15, 2, v15
	v_cndmask_b32_e32 v14, v0, v18, vcc_lo
	v_lshrrev_b32_e32 v18, 16, v1
	v_cvt_f64_f32_e32 v[0:1], v2
	v_mul_f64 v[2:3], v[12:13], s[18:19]
	v_cmp_ne_u32_e32 vcc_lo, 0, v10
	v_lshrrev_b32_e32 v12, 8, v11
	v_bfe_u32 v13, v11, 20, 11
	v_cmp_eq_u32_e64 s0, 3, v20
	v_and_or_b32 v14, 0x8000, v18, v14
	v_cndmask_b32_e64 v10, 0, 1, vcc_lo
	v_cmp_lt_i32_e32 vcc_lo, 5, v20
	v_and_b32_e32 v18, 0xffff, v23
	v_lshrrev_b32_e32 v11, 16, v11
	v_and_or_b32 v10, 0xffe, v12, v10
	v_sub_nc_u32_e32 v12, 0x3f1, v13
	s_or_b32 vcc_lo, s0, vcc_lo
	v_lshl_or_b32 v14, v14, 16, v18
	v_add_co_ci_u32_e32 v15, vcc_lo, 0, v15, vcc_lo
	v_or_b32_e32 v18, 0x1000, v10
	v_med3_i32 v12, v12, 0, 13
	v_cmp_ne_u32_e32 vcc_lo, 0, v6
	v_add_nc_u32_e32 v13, 0xfffffc10, v13
	v_mul_f64 v[0:1], v[0:1], s[18:19]
	v_and_or_b32 v2, 0x1ff, v3, v2
	v_lshrrev_b32_e32 v20, v12, v18
	v_cndmask_b32_e64 v6, 0, 1, vcc_lo
	v_cmp_gt_i32_e32 vcc_lo, 31, v19
	v_lshrrev_b32_e32 v21, 8, v3
	v_bfe_u32 v22, v3, 20, 11
	v_lshlrev_b32_e32 v12, v12, v20
	v_lshl_or_b32 v6, v6, 9, 0x7c00
	v_cndmask_b32_e32 v15, 0x7c00, v15, vcc_lo
	v_cmp_ne_u32_e32 vcc_lo, 0, v2
	v_lshrrev_b32_e32 v3, 16, v3
	v_cndmask_b32_e64 v2, 0, 1, vcc_lo
	v_cmp_ne_u32_e32 vcc_lo, v12, v18
	v_sub_nc_u32_e32 v18, 0x3f1, v22
	v_and_or_b32 v2, 0xffe, v21, v2
	v_cndmask_b32_e64 v12, 0, 1, vcc_lo
	v_cmp_eq_u32_e32 vcc_lo, 0x40f, v19
	v_med3_i32 v18, v18, 0, 13
	v_and_or_b32 v0, 0x1ff, v1, v0
	v_or_b32_e32 v19, 0x1000, v2
	v_or_b32_e32 v12, v20, v12
	v_cndmask_b32_e32 v6, v15, v6, vcc_lo
	v_lshl_or_b32 v15, v13, 12, v10
	v_cmp_gt_i32_e32 vcc_lo, 1, v13
	v_lshrrev_b32_e32 v20, 8, v1
	v_bfe_u32 v21, v1, 20, 11
	v_and_or_b32 v6, 0x8000, v7, v6
	v_cndmask_b32_e32 v12, v15, v12, vcc_lo
	v_lshrrev_b32_e32 v15, v18, v19
	v_cmp_ne_u32_e32 vcc_lo, 0, v0
	v_sub_nc_u32_e32 v7, 0x3f1, v21
	v_and_b32_e32 v6, 0xffff, v6
	v_and_b32_e32 v23, 7, v12
	v_lshlrev_b32_e32 v18, v18, v15
	v_cndmask_b32_e64 v0, 0, 1, vcc_lo
	v_lshrrev_b32_e32 v12, 2, v12
	v_med3_i32 v7, v7, 0, 13
	v_cmp_lt_i32_e32 vcc_lo, 5, v23
	v_cmp_ne_u32_e64 s0, v18, v19
	v_and_or_b32 v0, 0xffe, v20, v0
	v_add_nc_u32_e32 v20, 0xfffffc10, v22
	v_cndmask_b32_e64 v18, 0, 1, s0
	v_cmp_eq_u32_e64 s0, 3, v23
	v_or_b32_e32 v19, 0x1000, v0
	v_lshl_or_b32 v22, v20, 12, v2
	v_or_b32_e32 v15, v15, v18
	s_or_b32 vcc_lo, s0, vcc_lo
	v_lshrrev_b32_e32 v18, v7, v19
	v_add_co_ci_u32_e32 v12, vcc_lo, 0, v12, vcc_lo
	v_cmp_gt_i32_e32 vcc_lo, 1, v20
	v_lshlrev_b32_e32 v7, v7, v18
	v_cndmask_b32_e32 v15, v22, v15, vcc_lo
	v_cmp_ne_u32_e32 vcc_lo, 0, v10
	v_cndmask_b32_e64 v10, 0, 1, vcc_lo
	v_cmp_ne_u32_e32 vcc_lo, v7, v19
	v_add_nc_u32_e32 v19, 0xfffffc10, v21
	v_and_b32_e32 v21, 7, v15
	v_lshl_or_b32 v10, v10, 9, 0x7c00
	v_cndmask_b32_e64 v7, 0, 1, vcc_lo
	v_cmp_gt_i32_e32 vcc_lo, 31, v13
	v_cmp_gt_i32_e64 s1, 1, v19
	v_cmp_eq_u32_e64 s0, 3, v21
	v_or_b32_e32 v7, v18, v7
	v_lshl_or_b32 v18, v19, 12, v0
	v_cndmask_b32_e32 v12, 0x7c00, v12, vcc_lo
	v_cmp_lt_i32_e32 vcc_lo, 5, v21
	v_cndmask_b32_e64 v7, v18, v7, s1
	v_cmp_eq_u32_e64 s1, 0x40f, v13
	s_or_b32 vcc_lo, s0, vcc_lo
	v_and_b32_e32 v13, 7, v7
	v_cndmask_b32_e64 v10, v12, v10, s1
	v_lshrrev_b32_e32 v12, 2, v15
	v_lshrrev_b32_e32 v7, 2, v7
	v_cmp_gt_i32_e64 s1, 31, v20
	v_cmp_eq_u32_e64 s0, 3, v13
	v_and_or_b32 v10, 0x8000, v11, v10
	v_add_co_ci_u32_e32 v12, vcc_lo, 0, v12, vcc_lo
	v_cmp_ne_u32_e32 vcc_lo, 0, v2
	v_lshl_or_b32 v10, v10, 16, v6
	v_cndmask_b32_e64 v12, 0x7c00, v12, s1
	v_cndmask_b32_e64 v2, 0, 1, vcc_lo
	v_cmp_lt_i32_e32 vcc_lo, 5, v13
	v_lshl_or_b32 v2, v2, 9, 0x7c00
	s_or_b32 vcc_lo, s0, vcc_lo
	v_add_co_ci_u32_e32 v7, vcc_lo, 0, v7, vcc_lo
	v_cmp_ne_u32_e32 vcc_lo, 0, v0
	v_cndmask_b32_e64 v0, 0, 1, vcc_lo
	v_cmp_eq_u32_e32 vcc_lo, 0x40f, v20
	v_lshl_or_b32 v0, v0, 9, 0x7c00
	v_cndmask_b32_e32 v2, v12, v2, vcc_lo
	v_cmp_gt_i32_e32 vcc_lo, 31, v19
	v_and_or_b32 v2, 0x8000, v3, v2
	v_cndmask_b32_e32 v7, 0x7c00, v7, vcc_lo
	v_cmp_eq_u32_e32 vcc_lo, 0x40f, v19
	v_cndmask_b32_e32 v3, v7, v0, vcc_lo
	v_lshrrev_b32_e32 v7, 16, v1
	v_add_co_u32 v0, vcc_lo, v8, s17
	v_add_co_ci_u32_e32 v1, vcc_lo, s22, v9, vcc_lo
	v_and_or_b32 v6, 0x8000, v7, v3
	v_and_b32_e32 v7, 0xffff, v2
	v_add_co_u32 v2, vcc_lo, v0, s17
	v_add_co_ci_u32_e32 v3, vcc_lo, s22, v1, vcc_lo
	v_lshl_or_b32 v11, v6, 16, v7
	v_add_co_u32 v6, vcc_lo, v2, s17
	v_add_co_ci_u32_e32 v7, vcc_lo, s22, v3, vcc_lo
	global_store_dword v[4:5], v16, off
	global_store_dword v[8:9], v17, off
	;; [unrolled: 1-line block ×5, first 2 shown]
.LBB0_23:
	s_endpgm
	.section	.rodata,"a",@progbits
	.p2align	6, 0x0
	.amdhsa_kernel bluestein_single_back_len1040_dim1_half_op_CI_CI
		.amdhsa_group_segment_fixed_size 4160
		.amdhsa_private_segment_fixed_size 0
		.amdhsa_kernarg_size 104
		.amdhsa_user_sgpr_count 6
		.amdhsa_user_sgpr_private_segment_buffer 1
		.amdhsa_user_sgpr_dispatch_ptr 0
		.amdhsa_user_sgpr_queue_ptr 0
		.amdhsa_user_sgpr_kernarg_segment_ptr 1
		.amdhsa_user_sgpr_dispatch_id 0
		.amdhsa_user_sgpr_flat_scratch_init 0
		.amdhsa_user_sgpr_private_segment_size 0
		.amdhsa_wavefront_size32 1
		.amdhsa_uses_dynamic_stack 0
		.amdhsa_system_sgpr_private_segment_wavefront_offset 0
		.amdhsa_system_sgpr_workgroup_id_x 1
		.amdhsa_system_sgpr_workgroup_id_y 0
		.amdhsa_system_sgpr_workgroup_id_z 0
		.amdhsa_system_sgpr_workgroup_info 0
		.amdhsa_system_vgpr_workitem_id 0
		.amdhsa_next_free_vgpr 112
		.amdhsa_next_free_sgpr 24
		.amdhsa_reserve_vcc 1
		.amdhsa_reserve_flat_scratch 0
		.amdhsa_float_round_mode_32 0
		.amdhsa_float_round_mode_16_64 0
		.amdhsa_float_denorm_mode_32 3
		.amdhsa_float_denorm_mode_16_64 3
		.amdhsa_dx10_clamp 1
		.amdhsa_ieee_mode 1
		.amdhsa_fp16_overflow 0
		.amdhsa_workgroup_processor_mode 1
		.amdhsa_memory_ordered 1
		.amdhsa_forward_progress 0
		.amdhsa_shared_vgpr_count 0
		.amdhsa_exception_fp_ieee_invalid_op 0
		.amdhsa_exception_fp_denorm_src 0
		.amdhsa_exception_fp_ieee_div_zero 0
		.amdhsa_exception_fp_ieee_overflow 0
		.amdhsa_exception_fp_ieee_underflow 0
		.amdhsa_exception_fp_ieee_inexact 0
		.amdhsa_exception_int_div_zero 0
	.end_amdhsa_kernel
	.text
.Lfunc_end0:
	.size	bluestein_single_back_len1040_dim1_half_op_CI_CI, .Lfunc_end0-bluestein_single_back_len1040_dim1_half_op_CI_CI
                                        ; -- End function
	.section	.AMDGPU.csdata,"",@progbits
; Kernel info:
; codeLenInByte = 21444
; NumSgprs: 26
; NumVgprs: 112
; ScratchSize: 0
; MemoryBound: 0
; FloatMode: 240
; IeeeMode: 1
; LDSByteSize: 4160 bytes/workgroup (compile time only)
; SGPRBlocks: 3
; VGPRBlocks: 13
; NumSGPRsForWavesPerEU: 26
; NumVGPRsForWavesPerEU: 112
; Occupancy: 9
; WaveLimiterHint : 1
; COMPUTE_PGM_RSRC2:SCRATCH_EN: 0
; COMPUTE_PGM_RSRC2:USER_SGPR: 6
; COMPUTE_PGM_RSRC2:TRAP_HANDLER: 0
; COMPUTE_PGM_RSRC2:TGID_X_EN: 1
; COMPUTE_PGM_RSRC2:TGID_Y_EN: 0
; COMPUTE_PGM_RSRC2:TGID_Z_EN: 0
; COMPUTE_PGM_RSRC2:TIDIG_COMP_CNT: 0
	.text
	.p2alignl 6, 3214868480
	.fill 48, 4, 3214868480
	.type	__hip_cuid_1fbde150523ba2fc,@object ; @__hip_cuid_1fbde150523ba2fc
	.section	.bss,"aw",@nobits
	.globl	__hip_cuid_1fbde150523ba2fc
__hip_cuid_1fbde150523ba2fc:
	.byte	0                               ; 0x0
	.size	__hip_cuid_1fbde150523ba2fc, 1

	.ident	"AMD clang version 19.0.0git (https://github.com/RadeonOpenCompute/llvm-project roc-6.4.0 25133 c7fe45cf4b819c5991fe208aaa96edf142730f1d)"
	.section	".note.GNU-stack","",@progbits
	.addrsig
	.addrsig_sym __hip_cuid_1fbde150523ba2fc
	.amdgpu_metadata
---
amdhsa.kernels:
  - .args:
      - .actual_access:  read_only
        .address_space:  global
        .offset:         0
        .size:           8
        .value_kind:     global_buffer
      - .actual_access:  read_only
        .address_space:  global
        .offset:         8
        .size:           8
        .value_kind:     global_buffer
      - .actual_access:  read_only
        .address_space:  global
        .offset:         16
        .size:           8
        .value_kind:     global_buffer
      - .actual_access:  read_only
        .address_space:  global
        .offset:         24
        .size:           8
        .value_kind:     global_buffer
      - .actual_access:  read_only
        .address_space:  global
        .offset:         32
        .size:           8
        .value_kind:     global_buffer
      - .offset:         40
        .size:           8
        .value_kind:     by_value
      - .address_space:  global
        .offset:         48
        .size:           8
        .value_kind:     global_buffer
      - .address_space:  global
        .offset:         56
        .size:           8
        .value_kind:     global_buffer
      - .address_space:  global
        .offset:         64
        .size:           8
        .value_kind:     global_buffer
      - .address_space:  global
        .offset:         72
        .size:           8
        .value_kind:     global_buffer
      - .offset:         80
        .size:           4
        .value_kind:     by_value
      - .address_space:  global
        .offset:         88
        .size:           8
        .value_kind:     global_buffer
      - .address_space:  global
        .offset:         96
        .size:           8
        .value_kind:     global_buffer
    .group_segment_fixed_size: 4160
    .kernarg_segment_align: 8
    .kernarg_segment_size: 104
    .language:       OpenCL C
    .language_version:
      - 2
      - 0
    .max_flat_workgroup_size: 208
    .name:           bluestein_single_back_len1040_dim1_half_op_CI_CI
    .private_segment_fixed_size: 0
    .sgpr_count:     26
    .sgpr_spill_count: 0
    .symbol:         bluestein_single_back_len1040_dim1_half_op_CI_CI.kd
    .uniform_work_group_size: 1
    .uses_dynamic_stack: false
    .vgpr_count:     112
    .vgpr_spill_count: 0
    .wavefront_size: 32
    .workgroup_processor_mode: 1
amdhsa.target:   amdgcn-amd-amdhsa--gfx1030
amdhsa.version:
  - 1
  - 2
...

	.end_amdgpu_metadata
